;; amdgpu-corpus repo=ROCm/aiter kind=harvested arch=n/a opt=n/a

/root/src/amdgpu-assembly/repos/ROCm__aiter/hsa/gfx942/fmoe_2stages/fmoe_stage1_bf16_pertokenFp8_doweight_g1u1_112x64_pf2.co:	file format elf64-amdgpu

Disassembly of section .text:

0000000000002a00 <_ZN5aiter53fmoe_stage1_bf16_pertokenFp8_doweight_g1u1_112x64_pf2E>:
	s_and_b32 s1, s1, 0xffff                                   // 000000002A00: 8601FF01 0000FFFF
	s_load_dwordx2 s[8:9], s[0:1], 0x0                         // 000000002A08: C0060200 00000000
	s_load_dwordx2 s[20:21], s[0:1], 0x10                      // 000000002A10: C0060500 00000010
	s_load_dwordx2 s[24:25], s[0:1], 0x20                      // 000000002A18: C0060600 00000020
	s_load_dwordx2 s[48:49], s[0:1], 0x30                      // 000000002A20: C0060C00 00000030
	s_load_dwordx2 s[28:29], s[0:1], 0x40                      // 000000002A28: C0060700 00000040
	s_load_dwordx2 s[32:33], s[0:1], 0x50                      // 000000002A30: C0060800 00000050
	s_load_dwordx2 s[36:37], s[0:1], 0x60                      // 000000002A38: C0060900 00000060
	s_load_dwordx2 s[12:13], s[0:1], 0x70                      // 000000002A40: C0060300 00000070
	s_load_dwordx2 s[44:45], s[0:1], 0x80                      // 000000002A48: C0060B00 00000080
	s_mov_b32 s89, 0                                           // 000000002A50: BED90080
	s_load_dword s64, s[0:1], 0x90                             // 000000002A54: C0021000 00000090
	s_load_dword s65, s[0:1], 0xa0                             // 000000002A5C: C0021040 000000A0
	s_load_dword s66, s[0:1], 0xb0                             // 000000002A64: C0021080 000000B0
	s_load_dword s67, s[0:1], 0xc0                             // 000000002A6C: C00210C0 000000C0
	s_load_dword s68, s[0:1], 0xd0                             // 000000002A74: C0021100 000000D0
	s_load_dword s69, s[0:1], 0xe0                             // 000000002A7C: C0021140 000000E0
	s_load_dword s71, s[0:1], 0xf0                             // 000000002A84: C00211C0 000000F0
	s_load_dword s72, s[0:1], 0x100                            // 000000002A8C: C0021200 00000100
	s_load_dword s74, s[0:1], 0x110                            // 000000002A94: C0021280 00000110
	s_load_dword s76, s[0:1], 0x120                            // 000000002A9C: C0021300 00000120
	s_load_dword s56, s[0:1], 0x130                            // 000000002AA4: C0020E00 00000130
	s_load_dword s88, s[0:1], 0x140                            // 000000002AAC: C0021600 00000140
	s_load_dword s89, s[0:1], 0x150                            // 000000002AB4: C0021640 00000150
	s_load_dwordx2 s[40:41], s[0:1], 0x160                     // 000000002ABC: C0060A00 00000160
	v_lshrrev_b32_e32 v1, 10, v0                               // 000000002AC4: 2002008A
	v_lshrrev_b32_e32 v2, 10, v1                               // 000000002AC8: 2004028A
	v_and_b32_e32 v2, 0x3ff, v2                                // 000000002ACC: 260404FF 000003FF
	v_and_b32_e32 v1, 0x3ff, v1                                // 000000002AD4: 260202FF 000003FF
	v_and_b32_e32 v0, 0x3ff, v0                                // 000000002ADC: 260000FF 000003FF
	v_lshrrev_b32_e32 v3, 6, v0                                // 000000002AE4: 20060086
	v_and_b32_e32 v0, 63, v0                                   // 000000002AE8: 260000BF
	s_mov_b32 s2, s2                                           // 000000002AEC: BE820002
	s_mov_b32 s3, s3                                           // 000000002AF0: BE830003
	s_mov_b32 s4, s4                                           // 000000002AF4: BE840004
	v_readfirstlane_b32 s7, v3                                 // 000000002AF8: 7E0E0503
	s_waitcnt lgkmcnt(0)                                       // 000000002AFC: BF8CC07F
	s_and_b32 s49, s49, 0xffff                                 // 000000002B00: 8631FF31 0000FFFF
	s_load_dword s48, s[48:49], 0x0                            // 000000002B08: C0020C18 00000000
	s_and_b32 s45, s45, 0xffff                                 // 000000002B10: 862DFF2D 0000FFFF
	s_and_b32 s9, s9, 0xffff                                   // 000000002B18: 8609FF09 0000FFFF
	s_mul_i32 s60, s66, s68                                    // 000000002B20: 923C4442
	s_mul_i32 s61, s66, 4                                      // 000000002B24: 923D8442
	s_mov_b32 s22, s60                                         // 000000002B28: BE96003C
	s_mov_b32 s26, -16                                         // 000000002B2C: BE9A00D0
	s_mov_b32 s30, s61                                         // 000000002B30: BE9E003D
	s_mov_b32 s14, 0x1c0                                       // 000000002B34: BE8E00FF 000001C0
	s_mov_b32 s38, -16                                         // 000000002B3C: BEA600D0
	s_mov_b32 s10, -16                                         // 000000002B40: BE8A00D0
	s_mov_b32 s34, 0x100                                       // 000000002B44: BEA200FF 00000100
	s_mov_b32 s23, 0x20000                                     // 000000002B4C: BE9700FF 00020000
	s_mov_b32 s27, 0x20000                                     // 000000002B54: BE9B00FF 00020000
	s_mov_b32 s31, 0x20000                                     // 000000002B5C: BE9F00FF 00020000
	s_mov_b32 s35, 0x20000                                     // 000000002B64: BEA300FF 00020000
	s_mov_b32 s15, 0x20000                                     // 000000002B6C: BE8F00FF 00020000
	s_mov_b32 s39, 0x20000                                     // 000000002B74: BEA700FF 00020000
	s_mov_b32 s11, 0x20000                                     // 000000002B7C: BE8B00FF 00020000
	s_and_b32 s21, s21, 0xffff                                 // 000000002B84: 8615FF15 0000FFFF
	s_and_b32 s25, s25, 0xffff                                 // 000000002B8C: 8619FF19 0000FFFF
	s_and_b32 s29, s29, 0xffff                                 // 000000002B94: 861DFF1D 0000FFFF
	s_and_b32 s33, s33, 0xffff                                 // 000000002B9C: 8621FF21 0000FFFF
	s_and_b32 s13, s13, 0xffff                                 // 000000002BA4: 860DFF0D 0000FFFF
	s_and_b32 s37, s37, 0xffff                                 // 000000002BAC: 8625FF25 0000FFFF
	s_or_b32 s21, s21, 0x40000                                 // 000000002BB4: 8715FF15 00040000
	s_or_b32 s25, s25, 0x40000                                 // 000000002BBC: 8719FF19 00040000
	s_or_b32 s29, s29, 0x40000                                 // 000000002BC4: 871DFF1D 00040000
	s_or_b32 s33, s33, 0x40000                                 // 000000002BCC: 8721FF21 00040000
	s_or_b32 s13, s13, 0x40000                                 // 000000002BD4: 870DFF0D 00040000
	s_or_b32 s37, s37, 0x40000                                 // 000000002BDC: 8725FF25 00040000
	s_mov_b32 s42, -16                                         // 000000002BE4: BEAA00D0
	s_mov_b32 s43, 0x20000                                     // 000000002BE8: BEAB00FF 00020000
	s_and_b32 s41, s41, 0xffff                                 // 000000002BF0: 8629FF29 0000FFFF
	s_or_b32 s41, s41, 0x40000                                 // 000000002BF8: 8729FF29 00040000
	v_accvgpr_write_b32 a127, 0                                // 000000002C00: D3D9407F 18000080
	v_mov_b32_e32 v134, 0                                      // 000000002C08: 7F0C0280
	s_waitcnt lgkmcnt(0)                                       // 000000002C0C: BF8CC07F
	s_mul_i32 s60, s3, 0x70                                    // 000000002C10: 923CFF03 00000070
	s_cmp_lt_i32 s60, s48                                      // 000000002C18: BF04303C
	s_cbranch_scc0 label_1E8B                                  // 000000002C1C: BF841E00
	s_mov_b32 s80, 0                                           // 000000002C20: BED00080
	s_lshr_b32 s81, s64, s88                                   // 000000002C24: 8F515840
	s_mul_i32 s60, s3, 4                                       // 000000002C28: 923C8403
	s_add_u32 s44, s60, s44                                    // 000000002C2C: 802C2C3C
	s_addc_u32 s45, 0, s45                                     // 000000002C30: 822D2D80
	s_load_dword s5, s[44:45], 0x0                             // 000000002C34: C0020156 00000000
	s_mul_i32 s60, s3, 0x70                                    // 000000002C3C: 923CFF03 00000070
	s_mul_i32 s60, 4, s60                                      // 000000002C44: 923C3C84
	s_add_u32 s12, s60, s12                                    // 000000002C48: 800C0C3C
	s_addc_u32 s13, 0, s13                                     // 000000002C4C: 820D0D80
	v_and_b32_e32 v4, 15, v0                                   // 000000002C50: 2608008F
	v_lshlrev_b32_e32 v4, 2, v4                                // 000000002C54: 24080882
	buffer_load_dword v28, v4, s[12:15], 0 offen               // 000000002C58: E0501000 80031C04
	v_add_u32_e32 v4, 64, v4                                   // 000000002C60: 680808C0
	buffer_load_dword v29, v4, s[12:15], 0 offen               // 000000002C64: E0501000 80031D04
	v_add_u32_e32 v4, 64, v4                                   // 000000002C6C: 680808C0
	buffer_load_dword v30, v4, s[12:15], 0 offen               // 000000002C70: E0501000 80031E04
	v_add_u32_e32 v4, 64, v4                                   // 000000002C78: 680808C0
	buffer_load_dword v31, v4, s[12:15], 0 offen               // 000000002C7C: E0501000 80031F04
	v_add_u32_e32 v4, 64, v4                                   // 000000002C84: 680808C0
	buffer_load_dword v32, v4, s[12:15], 0 offen               // 000000002C88: E0501000 80032004
	v_add_u32_e32 v4, 64, v4                                   // 000000002C90: 680808C0
	buffer_load_dword v33, v4, s[12:15], 0 offen               // 000000002C94: E0501000 80032104
	v_add_u32_e32 v4, 64, v4                                   // 000000002C9C: 680808C0
	buffer_load_dword v34, v4, s[12:15], 0 offen               // 000000002CA0: E0501000 80032204
	v_add_u32_e32 v4, 64, v4                                   // 000000002CA8: 680808C0
	s_mul_i32 s60, 4, s7                                       // 000000002CAC: 923C0784
	v_lshlrev_b32_e32 v4, 4, v0                                // 000000002CB0: 24080084
	v_add_u32_e32 v4, s60, v4                                  // 000000002CB4: 6808083C
	buffer_load_dword v3, v4, s[12:15], 0 offen                // 000000002CB8: E0501000 80030304
	v_mov_b32_e32 v72, 0                                       // 000000002CC0: 7E900280
	v_mov_b32_e32 v100, 0                                      // 000000002CC4: 7EC80280
	v_mov_b32_e32 v73, 0                                       // 000000002CC8: 7E920280
	v_mov_b32_e32 v101, 0                                      // 000000002CCC: 7ECA0280
	v_mov_b32_e32 v74, 0                                       // 000000002CD0: 7E940280
	v_mov_b32_e32 v102, 0                                      // 000000002CD4: 7ECC0280
	v_mov_b32_e32 v75, 0                                       // 000000002CD8: 7E960280
	v_mov_b32_e32 v103, 0                                      // 000000002CDC: 7ECE0280
	v_mov_b32_e32 v76, 0                                       // 000000002CE0: 7E980280
	v_mov_b32_e32 v104, 0                                      // 000000002CE4: 7ED00280
	v_mov_b32_e32 v77, 0                                       // 000000002CE8: 7E9A0280
	v_mov_b32_e32 v105, 0                                      // 000000002CEC: 7ED20280
	v_mov_b32_e32 v78, 0                                       // 000000002CF0: 7E9C0280
	v_mov_b32_e32 v106, 0                                      // 000000002CF4: 7ED40280
	v_mov_b32_e32 v79, 0                                       // 000000002CF8: 7E9E0280
	v_mov_b32_e32 v107, 0                                      // 000000002CFC: 7ED60280
	v_mov_b32_e32 v80, 0                                       // 000000002D00: 7EA00280
	v_mov_b32_e32 v108, 0                                      // 000000002D04: 7ED80280
	v_mov_b32_e32 v81, 0                                       // 000000002D08: 7EA20280
	v_mov_b32_e32 v109, 0                                      // 000000002D0C: 7EDA0280
	v_mov_b32_e32 v82, 0                                       // 000000002D10: 7EA40280
	v_mov_b32_e32 v110, 0                                      // 000000002D14: 7EDC0280
	v_mov_b32_e32 v83, 0                                       // 000000002D18: 7EA60280
	v_mov_b32_e32 v111, 0                                      // 000000002D1C: 7EDE0280
	v_mov_b32_e32 v84, 0                                       // 000000002D20: 7EA80280
	v_mov_b32_e32 v112, 0                                      // 000000002D24: 7EE00280
	v_mov_b32_e32 v85, 0                                       // 000000002D28: 7EAA0280
	v_mov_b32_e32 v113, 0                                      // 000000002D2C: 7EE20280
	v_mov_b32_e32 v86, 0                                       // 000000002D30: 7EAC0280
	v_mov_b32_e32 v114, 0                                      // 000000002D34: 7EE40280
	v_mov_b32_e32 v87, 0                                       // 000000002D38: 7EAE0280
	v_mov_b32_e32 v115, 0                                      // 000000002D3C: 7EE60280
	v_mov_b32_e32 v88, 0                                       // 000000002D40: 7EB00280
	v_mov_b32_e32 v116, 0                                      // 000000002D44: 7EE80280
	v_mov_b32_e32 v89, 0                                       // 000000002D48: 7EB20280
	v_mov_b32_e32 v117, 0                                      // 000000002D4C: 7EEA0280
	v_mov_b32_e32 v90, 0                                       // 000000002D50: 7EB40280
	v_mov_b32_e32 v118, 0                                      // 000000002D54: 7EEC0280
	v_mov_b32_e32 v91, 0                                       // 000000002D58: 7EB60280
	v_mov_b32_e32 v119, 0                                      // 000000002D5C: 7EEE0280
	v_mov_b32_e32 v92, 0                                       // 000000002D60: 7EB80280
	v_mov_b32_e32 v120, 0                                      // 000000002D64: 7EF00280
	v_mov_b32_e32 v93, 0                                       // 000000002D68: 7EBA0280
	v_mov_b32_e32 v121, 0                                      // 000000002D6C: 7EF20280
	v_mov_b32_e32 v94, 0                                       // 000000002D70: 7EBC0280
	v_mov_b32_e32 v122, 0                                      // 000000002D74: 7EF40280
	v_mov_b32_e32 v95, 0                                       // 000000002D78: 7EBE0280
	v_mov_b32_e32 v123, 0                                      // 000000002D7C: 7EF60280
	v_mov_b32_e32 v96, 0                                       // 000000002D80: 7EC00280
	v_mov_b32_e32 v124, 0                                      // 000000002D84: 7EF80280
	v_mov_b32_e32 v97, 0                                       // 000000002D88: 7EC20280
	v_mov_b32_e32 v125, 0                                      // 000000002D8C: 7EFA0280
	v_mov_b32_e32 v98, 0                                       // 000000002D90: 7EC40280
	v_mov_b32_e32 v126, 0                                      // 000000002D94: 7EFC0280
	v_mov_b32_e32 v99, 0                                       // 000000002D98: 7EC60280
	v_mov_b32_e32 v127, 0                                      // 000000002D9C: 7EFE0280
	s_mul_i32 s60, s2, 0x80                                    // 000000002DA0: 923CFF02 00000080
	s_cmp_eq_u32 s88, 0                                        // 000000002DA8: BF068058
	s_cselect_b32 s61, 1, 2                                    // 000000002DAC: 853D8281
	s_mul_i32 s60, s60, s61                                    // 000000002DB0: 923C3D3C
	s_mov_b32 s90, s8                                          // 000000002DB4: BEDA0008
	s_mov_b32 s91, s9                                          // 000000002DB8: BEDB0009
	s_add_u32 s8, s60, s8                                      // 000000002DBC: 8008083C
	s_addc_u32 s9, 0, s9                                       // 000000002DC0: 82090980
	v_lshrrev_b32_e32 v4, 4, v0                                // 000000002DC4: 20080084
	v_mul_lo_u32 v20, 34, v4                                   // 000000002DC8: D2850014 000208A2
	v_and_b32_e32 v4, 15, v0                                   // 000000002DD0: 2608008F
	v_mul_lo_u32 v5, 2, v4                                     // 000000002DD4: D2850005 00020882
	v_add_u32_e32 v20, v5, v20                                 // 000000002DDC: 68282905
	s_mul_i32 s60, s7, 0x88                                    // 000000002DE0: 923CFF07 00000088
	v_add_u32_e32 v20, s60, v20                                // 000000002DE8: 6828283C
	v_lshlrev_b32_e32 v20, 2, v20                              // 000000002DEC: 24282882
	v_and_b32_e32 v4, 31, v0                                   // 000000002DF0: 2608009F
	v_lshrrev_b32_e32 v4, 1, v4                                // 000000002DF4: 20080881
	v_mul_lo_u32 v21, 34, v4                                   // 000000002DF8: D2850015 000208A2
	v_lshrrev_b32_e32 v4, 5, v0                                // 000000002E00: 20080085
	v_mul_lo_u32 v4, 8, v4                                     // 000000002E04: D2850004 00020888
	v_add_u32_e32 v21, v21, v4                                 // 000000002E0C: 682A0915
	v_and_b32_e32 v5, 1, v0                                    // 000000002E10: 260A0081
	v_add_u32_e32 v21, v5, v21                                 // 000000002E14: 682A2B05
	s_mul_i32 s60, s7, 2                                       // 000000002E18: 923C8207
	v_add_u32_e32 v21, s60, v21                                // 000000002E1C: 682A2A3C
	v_lshlrev_b32_e32 v21, 2, v21                              // 000000002E20: 242A2A82
	s_mul_i32 s60, s7, 0xe20                                   // 000000002E24: 923CFF07 00000E20
	s_add_u32 s48, 0, s60                                      // 000000002E2C: 80303C80
	s_add_u32 s49, 0x3880, s48                                 // 000000002E30: 803130FF 00003880
	v_lshrrev_b32_e32 v4, 4, v0                                // 000000002E38: 20080084
	v_lshlrev_b32_e32 v5, 2, v4                                // 000000002E3C: 240A0882
	v_and_b32_e32 v4, 15, v0                                   // 000000002E40: 2608008F
	v_lshrrev_b32_e32 v6, 2, v4                                // 000000002E44: 200C0882
	v_lshlrev_b32_e32 v6, 5, v6                                // 000000002E48: 240C0C85
	v_add_u32_e32 v5, v6, v5                                   // 000000002E4C: 680A0B06
	v_and_b32_e32 v4, 3, v0                                    // 000000002E50: 26080083
	v_mul_u32_u24_e32 v6, 0x388, v4                            // 000000002E54: 100C08FF 00000388
	v_add_u32_e32 v5, v6, v5                                   // 000000002E5C: 680A0B06
	v_lshlrev_b32_e32 v2, 2, v5                                // 000000002E60: 24040A82
	s_waitcnt lgkmcnt(0)                                       // 000000002E64: BF8CC07F
	s_mul_i32 s60, s2, 64                                      // 000000002E68: 923CC002
	s_mul_i32 s60, s60, s69                                    // 000000002E6C: 923C453C
	s_mul_i32 s61, s5, s72                                     // 000000002E70: 923D4805
	s_add_u32 s60, s61, s60                                    // 000000002E74: 803C3C3D
	s_add_u32 s24, s60, s24                                    // 000000002E78: 8018183C
	s_addc_u32 s25, 0, s25                                     // 000000002E7C: 82191980
	s_lshr_b32 s60, s64, s88                                   // 000000002E80: 8F3C5840
	s_mul_i32 s60, s4, s60                                     // 000000002E84: 923C3C04
	s_lshr_b32 s60, s60, 7                                     // 000000002E88: 8F3C873C
	s_mul_i32 s60, s60, 0x800                                  // 000000002E8C: 923CFF3C 00000800
	s_add_u32 s24, s60, s24                                    // 000000002E94: 8018183C
	s_addc_u32 s25, 0, s25                                     // 000000002E98: 82191980
	s_lshr_b32 s60, s69, s88                                   // 000000002E9C: 8F3C5845
	s_mul_i32 s60, s4, s60                                     // 000000002EA0: 923C3C04
	s_add_u32 s20, s60, s20                                    // 000000002EA4: 8014143C
	s_addc_u32 s21, 0, s21                                     // 000000002EA8: 82151580
	s_mul_i32 s60, s7, 16                                      // 000000002EAC: 923C9007
	s_mul_i32 s60, s60, s69                                    // 000000002EB0: 923C453C
	v_lshlrev_b32_e32 v70, 4, v0                               // 000000002EB4: 248C0084
	v_add_u32_e32 v70, s60, v70                                // 000000002EB8: 688C8C3C
	s_mul_i32 s60, 64, s69                                     // 000000002EBC: 923C45C0
	s_mov_b32 s84, s24                                         // 000000002EC0: BED40018
	s_mov_b32 s85, s25                                         // 000000002EC4: BED50019
	s_mov_b32 s86, s26                                         // 000000002EC8: BED6001A
	s_mov_b32 s87, s27                                         // 000000002ECC: BED7001B
	s_mul_i32 s60, s69, s65                                    // 000000002ED0: 923C4145
	s_add_u32 s84, s60, s84                                    // 000000002ED4: 8054543C
	s_addc_u32 s85, 0, s85                                     // 000000002ED8: 82555580
	v_lshrrev_b32_e32 v4, 4, v0                                // 000000002EDC: 20080084
	v_lshlrev_b32_e32 v5, 2, v4                                // 000000002EE0: 240A0882
	v_and_b32_e32 v4, 15, v0                                   // 000000002EE4: 2608008F
	v_lshrrev_b32_e32 v6, 2, v4                                // 000000002EE8: 200C0882
	v_lshlrev_b32_e32 v6, 6, v6                                // 000000002EEC: 240C0C86
	v_add_u32_e32 v5, v6, v5                                   // 000000002EF0: 680A0B06
	v_and_b32_e32 v4, 3, v0                                    // 000000002EF4: 26080083
	v_add_u32_e32 v5, v4, v5                                   // 000000002EF8: 680A0B04
	v_lshlrev_b32_e32 v22, 2, v5                               // 000000002EFC: 242C0A82
	s_mul_i32 s60, s7, 16                                      // 000000002F00: 923C9007
	s_mul_i32 s60, s60, 4                                      // 000000002F04: 923C843C
	v_add_u32_e32 v22, s60, v22                                // 000000002F08: 682C2C3C
	s_mul_i32 s60, s2, 64                                      // 000000002F0C: 923CC002
	s_mul_i32 s60, s60, 4                                      // 000000002F10: 923C843C
	s_mul_i32 s61, s5, s74                                     // 000000002F14: 923D4A05
	s_add_u32 s61, s61, s60                                    // 000000002F18: 803D3C3D
	s_add_u32 s32, s61, s32                                    // 000000002F1C: 8020203D
	s_addc_u32 s33, 0, s33                                     // 000000002F20: 82212180
	s_mov_b32 s57, 0x80                                        // 000000002F24: BEB900FF 00000080
	s_mov_b32 s58, 0x800                                       // 000000002F2C: BEBA00FF 00000800
	s_mov_b32 s83, s58                                         // 000000002F34: BED3003A
	s_mov_b32 s52, 0x7060302                                   // 000000002F38: BEB400FF 07060302
	s_mov_b32 s53, 0x400                                       // 000000002F40: BEB500FF 00000400
	s_mov_b32 s54, 0x40100                                     // 000000002F48: BEB600FF 00040100
	s_mov_b32 s55, 0x4020100                                   // 000000002F50: BEB700FF 04020100
	s_mov_b32 s6, 0x3fb8aa3b                                   // 000000002F58: BE8600FF 3FB8AA3B
	s_mov_b32 s78, 0xbd92220c                                  // 000000002F60: BECE00FF BD92220C
	s_mov_b32 s79, 0xbd92220c                                  // 000000002F68: BECF00FF BD92220C
	s_mov_b32 m0, s48                                          // 000000002F70: BEFC0030
	v_mov_b32_e32 v1, 0xbfcc4231                               // 000000002F74: 7E0202FF BFCC4231
	v_mov_b32_e32 v17, 0xffff0000                              // 000000002F7C: 7E2202FF FFFF0000
	v_mov_b32_e32 v18, 0x7fff0000                              // 000000002F84: 7E2402FF 7FFF0000
	v_mov_b32_e32 v19, 0x7fff                                  // 000000002F8C: 7E2602FF 00007FFF
	s_waitcnt vmcnt(0) expcnt(0) lgkmcnt(0)                    // 000000002F94: BF8C0000
	s_mul_i32 s60, s3, 0x70                                    // 000000002F98: 923CFF03 00000070
	s_mul_i32 s60, 4, s60                                      // 000000002FA0: 923C3C84
	s_add_u32 s40, s60, s40                                    // 000000002FA4: 8028283C
	s_addc_u32 s41, 0, s41                                     // 000000002FA8: 82292980
	v_and_b32_e32 v4, 15, v0                                   // 000000002FAC: 2608008F
	v_lshlrev_b32_e32 v4, 2, v4                                // 000000002FB0: 24080882
	buffer_load_dword v128, v4, s[40:43], 0 offen              // 000000002FB4: E0501000 800A8004
	buffer_load_dword v129, v4, s[40:43], 0 offen offset:64    // 000000002FBC: E0501040 800A8104
	buffer_load_dword v130, v4, s[40:43], 0 offen offset:128   // 000000002FC4: E0501080 800A8204
	buffer_load_dword v131, v4, s[40:43], 0 offen offset:192   // 000000002FCC: E05010C0 800A8304
	buffer_load_dword v132, v4, s[40:43], 0 offen offset:256   // 000000002FD4: E0501100 800A8404
	buffer_load_dword v133, v4, s[40:43], 0 offen offset:320   // 000000002FDC: E0501140 800A8504
	buffer_load_dword v134, v4, s[40:43], 0 offen offset:384   // 000000002FE4: E0501180 800A8604
	v_lshrrev_b32_e32 v4, 5, v0                                // 000000002FEC: 20080085
	v_xor_b32_e32 v5, 1, v4                                    // 000000002FF0: 2A0A0881
	v_readlane_b32 s82, v3, 0                                  // 000000002FF4: D2890052 00010103
	s_and_b32 s82, s82, 0xffffff                               // 000000002FFC: 8652FF52 00FFFFFF
	v_mul_lo_u32 v6, v5, s82                                   // 000000003004: D2850006 0000A505
	v_readlane_b32 s82, v3, 1                                  // 00000000300C: D2890052 00010303
	s_and_b32 s82, s82, 0xffffff                               // 000000003014: 8652FF52 00FFFFFF
	v_mul_lo_u32 v7, v4, s82                                   // 00000000301C: D2850007 0000A504
	v_add_u32_e32 v56, v6, v7                                  // 000000003024: 68700F06
	v_mul_lo_u32 v56, v56, s68                                 // 000000003028: D2850038 00008938
	v_readlane_b32 s82, v3, 2                                  // 000000003030: D2890052 00010503
	s_and_b32 s82, s82, 0xffffff                               // 000000003038: 8652FF52 00FFFFFF
	v_mul_lo_u32 v6, v5, s82                                   // 000000003040: D2850006 0000A505
	v_readlane_b32 s82, v3, 3                                  // 000000003048: D2890052 00010703
	s_and_b32 s82, s82, 0xffffff                               // 000000003050: 8652FF52 00FFFFFF
	v_mul_lo_u32 v7, v4, s82                                   // 000000003058: D2850007 0000A504
	v_add_u32_e32 v57, v6, v7                                  // 000000003060: 68720F06
	v_mul_lo_u32 v57, v57, s68                                 // 000000003064: D2850039 00008939
	v_readlane_b32 s82, v3, 4                                  // 00000000306C: D2890052 00010903
	s_and_b32 s82, s82, 0xffffff                               // 000000003074: 8652FF52 00FFFFFF
	v_mul_lo_u32 v6, v5, s82                                   // 00000000307C: D2850006 0000A505
	v_readlane_b32 s82, v3, 5                                  // 000000003084: D2890052 00010B03
	s_and_b32 s82, s82, 0xffffff                               // 00000000308C: 8652FF52 00FFFFFF
	v_mul_lo_u32 v7, v4, s82                                   // 000000003094: D2850007 0000A504
	v_add_u32_e32 v58, v6, v7                                  // 00000000309C: 68740F06
	v_mul_lo_u32 v58, v58, s68                                 // 0000000030A0: D285003A 0000893A
	v_readlane_b32 s82, v3, 6                                  // 0000000030A8: D2890052 00010D03
	s_and_b32 s82, s82, 0xffffff                               // 0000000030B0: 8652FF52 00FFFFFF
	v_mul_lo_u32 v6, v5, s82                                   // 0000000030B8: D2850006 0000A505
	v_readlane_b32 s82, v3, 7                                  // 0000000030C0: D2890052 00010F03
	s_and_b32 s82, s82, 0xffffff                               // 0000000030C8: 8652FF52 00FFFFFF
	v_mul_lo_u32 v7, v4, s82                                   // 0000000030D0: D2850007 0000A504
	v_add_u32_e32 v59, v6, v7                                  // 0000000030D8: 68760F06
	v_mul_lo_u32 v59, v59, s68                                 // 0000000030DC: D285003B 0000893B
	v_readlane_b32 s82, v3, 8                                  // 0000000030E4: D2890052 00011103
	s_and_b32 s82, s82, 0xffffff                               // 0000000030EC: 8652FF52 00FFFFFF
	v_mul_lo_u32 v6, v5, s82                                   // 0000000030F4: D2850006 0000A505
	v_readlane_b32 s82, v3, 9                                  // 0000000030FC: D2890052 00011303
	s_and_b32 s82, s82, 0xffffff                               // 000000003104: 8652FF52 00FFFFFF
	v_mul_lo_u32 v7, v4, s82                                   // 00000000310C: D2850007 0000A504
	v_add_u32_e32 v60, v6, v7                                  // 000000003114: 68780F06
	v_mul_lo_u32 v60, v60, s68                                 // 000000003118: D285003C 0000893C
	v_readlane_b32 s82, v3, 10                                 // 000000003120: D2890052 00011503
	s_and_b32 s82, s82, 0xffffff                               // 000000003128: 8652FF52 00FFFFFF
	v_mul_lo_u32 v6, v5, s82                                   // 000000003130: D2850006 0000A505
	v_readlane_b32 s82, v3, 11                                 // 000000003138: D2890052 00011703
	s_and_b32 s82, s82, 0xffffff                               // 000000003140: 8652FF52 00FFFFFF
	v_mul_lo_u32 v7, v4, s82                                   // 000000003148: D2850007 0000A504
	v_add_u32_e32 v61, v6, v7                                  // 000000003150: 687A0F06
	v_mul_lo_u32 v61, v61, s68                                 // 000000003154: D285003D 0000893D
	v_readlane_b32 s82, v3, 12                                 // 00000000315C: D2890052 00011903
	s_and_b32 s82, s82, 0xffffff                               // 000000003164: 8652FF52 00FFFFFF
	v_mul_lo_u32 v6, v5, s82                                   // 00000000316C: D2850006 0000A505
	v_readlane_b32 s82, v3, 13                                 // 000000003174: D2890052 00011B03
	s_and_b32 s82, s82, 0xffffff                               // 00000000317C: 8652FF52 00FFFFFF
	v_mul_lo_u32 v7, v4, s82                                   // 000000003184: D2850007 0000A504
	v_add_u32_e32 v62, v6, v7                                  // 00000000318C: 687C0F06
	v_mul_lo_u32 v62, v62, s68                                 // 000000003190: D285003E 0000893E
	v_readlane_b32 s82, v3, 14                                 // 000000003198: D2890052 00011D03
	s_and_b32 s82, s82, 0xffffff                               // 0000000031A0: 8652FF52 00FFFFFF
	v_mul_lo_u32 v6, v5, s82                                   // 0000000031A8: D2850006 0000A505
	v_readlane_b32 s82, v3, 15                                 // 0000000031B0: D2890052 00011F03
	s_and_b32 s82, s82, 0xffffff                               // 0000000031B8: 8652FF52 00FFFFFF
	v_mul_lo_u32 v7, v4, s82                                   // 0000000031C0: D2850007 0000A504
	v_add_u32_e32 v63, v6, v7                                  // 0000000031C8: 687E0F06
	v_mul_lo_u32 v63, v63, s68                                 // 0000000031CC: D285003F 0000893F
	v_readlane_b32 s82, v3, 16                                 // 0000000031D4: D2890052 00012103
	s_and_b32 s82, s82, 0xffffff                               // 0000000031DC: 8652FF52 00FFFFFF
	v_mul_lo_u32 v6, v5, s82                                   // 0000000031E4: D2850006 0000A505
	v_readlane_b32 s82, v3, 17                                 // 0000000031EC: D2890052 00012303
	s_and_b32 s82, s82, 0xffffff                               // 0000000031F4: 8652FF52 00FFFFFF
	v_mul_lo_u32 v7, v4, s82                                   // 0000000031FC: D2850007 0000A504
	v_add_u32_e32 v64, v6, v7                                  // 000000003204: 68800F06
	v_mul_lo_u32 v64, v64, s68                                 // 000000003208: D2850040 00008940
	v_readlane_b32 s82, v3, 18                                 // 000000003210: D2890052 00012503
	s_and_b32 s82, s82, 0xffffff                               // 000000003218: 8652FF52 00FFFFFF
	v_mul_lo_u32 v6, v5, s82                                   // 000000003220: D2850006 0000A505
	v_readlane_b32 s82, v3, 19                                 // 000000003228: D2890052 00012703
	s_and_b32 s82, s82, 0xffffff                               // 000000003230: 8652FF52 00FFFFFF
	v_mul_lo_u32 v7, v4, s82                                   // 000000003238: D2850007 0000A504
	v_add_u32_e32 v65, v6, v7                                  // 000000003240: 68820F06
	v_mul_lo_u32 v65, v65, s68                                 // 000000003244: D2850041 00008941
	v_readlane_b32 s82, v3, 20                                 // 00000000324C: D2890052 00012903
	s_and_b32 s82, s82, 0xffffff                               // 000000003254: 8652FF52 00FFFFFF
	v_mul_lo_u32 v6, v5, s82                                   // 00000000325C: D2850006 0000A505
	v_readlane_b32 s82, v3, 21                                 // 000000003264: D2890052 00012B03
	s_and_b32 s82, s82, 0xffffff                               // 00000000326C: 8652FF52 00FFFFFF
	v_mul_lo_u32 v7, v4, s82                                   // 000000003274: D2850007 0000A504
	v_add_u32_e32 v66, v6, v7                                  // 00000000327C: 68840F06
	v_mul_lo_u32 v66, v66, s68                                 // 000000003280: D2850042 00008942
	v_readlane_b32 s82, v3, 22                                 // 000000003288: D2890052 00012D03
	s_and_b32 s82, s82, 0xffffff                               // 000000003290: 8652FF52 00FFFFFF
	v_mul_lo_u32 v6, v5, s82                                   // 000000003298: D2850006 0000A505
	v_readlane_b32 s82, v3, 23                                 // 0000000032A0: D2890052 00012F03
	s_and_b32 s82, s82, 0xffffff                               // 0000000032A8: 8652FF52 00FFFFFF
	v_mul_lo_u32 v7, v4, s82                                   // 0000000032B0: D2850007 0000A504
	v_add_u32_e32 v67, v6, v7                                  // 0000000032B8: 68860F06
	v_mul_lo_u32 v67, v67, s68                                 // 0000000032BC: D2850043 00008943
	v_readlane_b32 s82, v3, 24                                 // 0000000032C4: D2890052 00013103
	s_and_b32 s82, s82, 0xffffff                               // 0000000032CC: 8652FF52 00FFFFFF
	v_mul_lo_u32 v6, v5, s82                                   // 0000000032D4: D2850006 0000A505
	v_readlane_b32 s82, v3, 25                                 // 0000000032DC: D2890052 00013303
	s_and_b32 s82, s82, 0xffffff                               // 0000000032E4: 8652FF52 00FFFFFF
	v_mul_lo_u32 v7, v4, s82                                   // 0000000032EC: D2850007 0000A504
	v_add_u32_e32 v68, v6, v7                                  // 0000000032F4: 68880F06
	v_mul_lo_u32 v68, v68, s68                                 // 0000000032F8: D2850044 00008944
	v_readlane_b32 s82, v3, 26                                 // 000000003300: D2890052 00013503
	s_and_b32 s82, s82, 0xffffff                               // 000000003308: 8652FF52 00FFFFFF
	v_mul_lo_u32 v6, v5, s82                                   // 000000003310: D2850006 0000A505
	v_readlane_b32 s82, v3, 27                                 // 000000003318: D2890052 00013703
	s_and_b32 s82, s82, 0xffffff                               // 000000003320: 8652FF52 00FFFFFF
	v_mul_lo_u32 v7, v4, s82                                   // 000000003328: D2850007 0000A504
	v_add_u32_e32 v69, v6, v7                                  // 000000003330: 688A0F06
	v_mul_lo_u32 v69, v69, s68                                 // 000000003334: D2850045 00008945
	v_and_b32_e32 v4, 31, v0                                   // 00000000333C: 2608009F
	v_lshlrev_b32_e32 v4, 2, v4                                // 000000003340: 24080882
	v_add_u32_e32 v56, v56, v4                                 // 000000003344: 68700938
	v_add_u32_e32 v57, v57, v4                                 // 000000003348: 68720939
	v_add_u32_e32 v58, v58, v4                                 // 00000000334C: 6874093A
	v_add_u32_e32 v59, v59, v4                                 // 000000003350: 6876093B
	v_add_u32_e32 v60, v60, v4                                 // 000000003354: 6878093C
	v_add_u32_e32 v61, v61, v4                                 // 000000003358: 687A093D
	v_add_u32_e32 v62, v62, v4                                 // 00000000335C: 687C093E
	v_add_u32_e32 v63, v63, v4                                 // 000000003360: 687E093F
	v_add_u32_e32 v64, v64, v4                                 // 000000003364: 68800940
	v_add_u32_e32 v65, v65, v4                                 // 000000003368: 68820941
	v_add_u32_e32 v66, v66, v4                                 // 00000000336C: 68840942
	v_add_u32_e32 v67, v67, v4                                 // 000000003370: 68860943
	v_add_u32_e32 v68, v68, v4                                 // 000000003374: 68880944
	v_add_u32_e32 v69, v69, v4                                 // 000000003378: 688A0945
	v_and_b32_e32 v28, 0xffffff, v28                           // 00000000337C: 263838FF 00FFFFFF
	v_lshlrev_b32_e32 v28, 2, v28                              // 000000003384: 24383882
	v_and_b32_e32 v29, 0xffffff, v29                           // 000000003388: 263A3AFF 00FFFFFF
	v_lshlrev_b32_e32 v29, 2, v29                              // 000000003390: 243A3A82
	v_and_b32_e32 v30, 0xffffff, v30                           // 000000003394: 263C3CFF 00FFFFFF
	v_lshlrev_b32_e32 v30, 2, v30                              // 00000000339C: 243C3C82
	v_and_b32_e32 v31, 0xffffff, v31                           // 0000000033A0: 263E3EFF 00FFFFFF
	v_lshlrev_b32_e32 v31, 2, v31                              // 0000000033A8: 243E3E82
	v_and_b32_e32 v32, 0xffffff, v32                           // 0000000033AC: 264040FF 00FFFFFF
	v_lshlrev_b32_e32 v32, 2, v32                              // 0000000033B4: 24404082
	v_and_b32_e32 v33, 0xffffff, v33                           // 0000000033B8: 264242FF 00FFFFFF
	v_lshlrev_b32_e32 v33, 2, v33                              // 0000000033C0: 24424282
	v_and_b32_e32 v34, 0xffffff, v34                           // 0000000033C4: 264444FF 00FFFFFF
	v_lshlrev_b32_e32 v34, 2, v34                              // 0000000033CC: 24444482
	s_lshl_b32 s3, s66, 2                                      // 0000000033D0: 8E038242
	buffer_load_dword v35, v28, s[28:31], 0 offen              // 0000000033D4: E0501000 8007231C
	buffer_load_dword v36, v29, s[28:31], 0 offen              // 0000000033DC: E0501000 8007241D
	buffer_load_dword v37, v30, s[28:31], 0 offen              // 0000000033E4: E0501000 8007251E
	buffer_load_dword v38, v31, s[28:31], 0 offen              // 0000000033EC: E0501000 8007261F
	buffer_load_dword v39, v32, s[28:31], 0 offen              // 0000000033F4: E0501000 80072720
	buffer_load_dword v40, v33, s[28:31], 0 offen              // 0000000033FC: E0501000 80072821
	buffer_load_dword v41, v34, s[28:31], 0 offen              // 000000003404: E0501000 80072922
	buffer_load_dword v24, v22, s[32:35], 0 offen              // 00000000340C: E0501000 80081816
	s_mul_i32 s60, 4, s65                                      // 000000003414: 923C4184
	s_add_u32 s32, s60, s32                                    // 000000003418: 8020203C
	s_addc_u32 s33, 0, s33                                     // 00000000341C: 82212180
	buffer_load_dword v26, v22, s[32:35], 0 offen              // 000000003420: E0501000 80081A16
	buffer_load_dword v56, s[20:23], 0 offen lds               // 000000003428: E0511000 80050038
	s_add_u32 m0, 0x100, s48                                   // 000000003430: 807C30FF 00000100
	buffer_load_dword v57, s[20:23], 0 offen lds               // 000000003438: E0511000 80050039
	s_add_u32 m0, 0x200, s48                                   // 000000003440: 807C30FF 00000200
	buffer_load_dword v58, s[20:23], 0 offen lds               // 000000003448: E0511000 8005003A
	s_add_u32 m0, 0x300, s48                                   // 000000003450: 807C30FF 00000300
	buffer_load_dword v59, s[20:23], 0 offen lds               // 000000003458: E0511000 8005003B
	s_add_u32 m0, 0x400, s48                                   // 000000003460: 807C30FF 00000400
	buffer_load_dword v60, s[20:23], 0 offen lds               // 000000003468: E0511000 8005003C
	s_add_u32 m0, 0x500, s48                                   // 000000003470: 807C30FF 00000500
	buffer_load_dword v61, s[20:23], 0 offen lds               // 000000003478: E0511000 8005003D
	s_add_u32 m0, 0x600, s48                                   // 000000003480: 807C30FF 00000600
	buffer_load_dword v62, s[20:23], 0 offen lds               // 000000003488: E0511000 8005003E
	s_add_u32 m0, 0x700, s48                                   // 000000003490: 807C30FF 00000700
	buffer_load_dword v63, s[20:23], 0 offen lds               // 000000003498: E0511000 8005003F
	s_add_u32 m0, 0x800, s48                                   // 0000000034A0: 807C30FF 00000800
	buffer_load_dword v64, s[20:23], 0 offen lds               // 0000000034A8: E0511000 80050040
	s_add_u32 m0, 0x900, s48                                   // 0000000034B0: 807C30FF 00000900
	buffer_load_dword v65, s[20:23], 0 offen lds               // 0000000034B8: E0511000 80050041
	s_add_u32 m0, 0xa00, s48                                   // 0000000034C0: 807C30FF 00000A00
	buffer_load_dword v66, s[20:23], 0 offen lds               // 0000000034C8: E0511000 80050042
	s_add_u32 m0, 0xb00, s48                                   // 0000000034D0: 807C30FF 00000B00
	buffer_load_dword v67, s[20:23], 0 offen lds               // 0000000034D8: E0511000 80050043
	s_add_u32 m0, 0xc00, s48                                   // 0000000034E0: 807C30FF 00000C00
	buffer_load_dword v68, s[20:23], 0 offen lds               // 0000000034E8: E0511000 80050044
	s_add_u32 m0, 0xd00, s48                                   // 0000000034F0: 807C30FF 00000D00
	buffer_load_dword v69, s[20:23], 0 offen lds               // 0000000034F8: E0511000 80050045
	s_add_u32 m0, 0, s49                                       // 000000003500: 807C3180
	s_add_u32 s20, s57, s20                                    // 000000003504: 80141439
	s_addc_u32 s21, 0, s21                                     // 000000003508: 82151580
	buffer_load_dword v56, s[20:23], 0 offen lds               // 00000000350C: E0511000 80050038
	s_add_u32 m0, 0x100, s49                                   // 000000003514: 807C31FF 00000100
	buffer_load_dword v57, s[20:23], 0 offen lds               // 00000000351C: E0511000 80050039
	s_add_u32 m0, 0x200, s49                                   // 000000003524: 807C31FF 00000200
	buffer_load_dword v58, s[20:23], 0 offen lds               // 00000000352C: E0511000 8005003A
	s_add_u32 m0, 0x300, s49                                   // 000000003534: 807C31FF 00000300
	buffer_load_dword v59, s[20:23], 0 offen lds               // 00000000353C: E0511000 8005003B
	s_add_u32 m0, 0x400, s49                                   // 000000003544: 807C31FF 00000400
	buffer_load_dword v60, s[20:23], 0 offen lds               // 00000000354C: E0511000 8005003C
	s_add_u32 m0, 0x500, s49                                   // 000000003554: 807C31FF 00000500
	buffer_load_dword v61, s[20:23], 0 offen lds               // 00000000355C: E0511000 8005003D
	s_add_u32 m0, 0x600, s49                                   // 000000003564: 807C31FF 00000600
	buffer_load_dword v62, s[20:23], 0 offen lds               // 00000000356C: E0511000 8005003E
	s_add_u32 m0, 0x700, s49                                   // 000000003574: 807C31FF 00000700
	buffer_load_dword v63, s[20:23], 0 offen lds               // 00000000357C: E0511000 8005003F
	s_add_u32 m0, 0x800, s49                                   // 000000003584: 807C31FF 00000800
	buffer_load_dword v64, s[20:23], 0 offen lds               // 00000000358C: E0511000 80050040
	s_add_u32 m0, 0x900, s49                                   // 000000003594: 807C31FF 00000900
	buffer_load_dword v65, s[20:23], 0 offen lds               // 00000000359C: E0511000 80050041
	s_add_u32 m0, 0xa00, s49                                   // 0000000035A4: 807C31FF 00000A00
	buffer_load_dword v66, s[20:23], 0 offen lds               // 0000000035AC: E0511000 80050042
	s_add_u32 m0, 0xb00, s49                                   // 0000000035B4: 807C31FF 00000B00
	buffer_load_dword v67, s[20:23], 0 offen lds               // 0000000035BC: E0511000 80050043
	s_add_u32 m0, 0xc00, s49                                   // 0000000035C4: 807C31FF 00000C00
	buffer_load_dword v68, s[20:23], 0 offen lds               // 0000000035CC: E0511000 80050044
	s_add_u32 m0, 0xd00, s49                                   // 0000000035D4: 807C31FF 00000D00
	buffer_load_dword v69, s[20:23], 0 offen lds               // 0000000035DC: E0511000 80050045
	s_add_u32 m0, 0, s48                                       // 0000000035E4: 807C3080
	s_add_u32 s20, s57, s20                                    // 0000000035E8: 80141439
	s_addc_u32 s21, 0, s21                                     // 0000000035EC: 82151580
	buffer_load_dwordx4 a[112:115], v70, s[24:27], 0 offen     // 0000000035F0: E05C1000 80867046
	buffer_load_dwordx4 a[116:119], v70, s[24:27], 0 offen offset:1024// 0000000035F8: E05C1400 80867446
	s_add_u32 s24, s58, s24                                    // 000000003600: 8018183A
	s_addc_u32 s25, 0, s25                                     // 000000003604: 82191980
	s_waitcnt vmcnt(16)                                        // 000000003608: BF8C4F70
	s_barrier                                                  // 00000000360C: BF8A0000
	ds_read_b128 a[0:3], v2                                    // 000000003610: DBFE0000 00000002
	ds_read_b128 a[4:7], v2 offset:64                          // 000000003618: DBFE0040 04000002
	ds_read_b128 a[8:11], v2 offset:512                        // 000000003620: DBFE0200 08000002
	ds_read_b128 a[12:15], v2 offset:576                       // 000000003628: DBFE0240 0C000002
	ds_read_b128 a[16:19], v2 offset:1024                      // 000000003630: DBFE0400 10000002
	ds_read_b128 a[20:23], v2 offset:1088                      // 000000003638: DBFE0440 14000002
	ds_read_b128 a[24:27], v2 offset:1536                      // 000000003640: DBFE0600 18000002
	ds_read_b128 a[28:31], v2 offset:1600                      // 000000003648: DBFE0640 1C000002
	ds_read_b128 a[32:35], v2 offset:2048                      // 000000003650: DBFE0800 20000002
	ds_read_b128 a[36:39], v2 offset:2112                      // 000000003658: DBFE0840 24000002
	ds_read_b128 a[40:43], v2 offset:2560                      // 000000003660: DBFE0A00 28000002
	ds_read_b128 a[44:47], v2 offset:2624                      // 000000003668: DBFE0A40 2C000002
	ds_read_b128 a[48:51], v2 offset:3072                      // 000000003670: DBFE0C00 30000002
	ds_read_b128 a[52:55], v2 offset:3136                      // 000000003678: DBFE0C40 34000002
	s_cmp_lt_i32 s7, 2                                         // 000000003680: BF048207
	s_cbranch_scc0 label_10D8                                  // 000000003684: BF840DB3

0000000000003688 <label_0322>:
	s_waitcnt vmcnt(0) lgkmcnt(0)                              // 000000003688: BF8C0070
	s_barrier                                                  // 00000000368C: BF8A0000
	v_mfma_f32_16x16x32_fp8_fp8 v[72:75], a[112:113], a[0:1], v[72:75]// 000000003690: D3F30048 1D220170
	v_mfma_f32_16x16x32_fp8_fp8 v[72:75], a[114:115], a[2:3], v[72:75]// 000000003698: D3F30048 1D220572
	buffer_load_dwordx4 a[120:123], v70, s[84:87], 0 offen     // 0000000036A0: E05C1000 80957846
	v_mfma_f32_16x16x32_fp8_fp8 v[72:75], a[116:117], a[4:5], v[72:75]// 0000000036A8: D3F30048 1D220974
	v_mfma_f32_16x16x32_fp8_fp8 v[72:75], a[118:119], a[6:7], v[72:75]// 0000000036B0: D3F30048 1D220D76
	v_mfma_f32_16x16x32_fp8_fp8 v[76:79], a[112:113], a[8:9], v[76:79]// 0000000036B8: D3F3004C 1D321170
	v_mfma_f32_16x16x32_fp8_fp8 v[76:79], a[114:115], a[10:11], v[76:79]// 0000000036C0: D3F3004C 1D321572
	buffer_load_dwordx4 a[124:127], v70, s[84:87], 0 offen offset:1024// 0000000036C8: E05C1400 80957C46
	buffer_load_dword v56, s[20:23], 0 offen lds               // 0000000036D0: E0511000 80050038
	s_add_u32 m0, 0x100, s48                                   // 0000000036D8: 807C30FF 00000100
	v_mfma_f32_16x16x32_fp8_fp8 v[76:79], a[116:117], a[12:13], v[76:79]// 0000000036E0: D3F3004C 1D321974
	v_mfma_f32_16x16x32_fp8_fp8 v[76:79], a[118:119], a[14:15], v[76:79]// 0000000036E8: D3F3004C 1D321D76
	buffer_load_dword v57, s[20:23], 0 offen lds               // 0000000036F0: E0511000 80050039
	s_add_u32 m0, 0x200, s48                                   // 0000000036F8: 807C30FF 00000200
	v_mfma_f32_16x16x32_fp8_fp8 v[80:83], a[112:113], a[16:17], v[80:83]// 000000003700: D3F30050 1D422170
	v_mfma_f32_16x16x32_fp8_fp8 v[80:83], a[114:115], a[18:19], v[80:83]// 000000003708: D3F30050 1D422572
	buffer_load_dword v58, s[20:23], 0 offen lds               // 000000003710: E0511000 8005003A
	s_add_u32 m0, 0x300, s48                                   // 000000003718: 807C30FF 00000300
	v_mfma_f32_16x16x32_fp8_fp8 v[80:83], a[116:117], a[20:21], v[80:83]// 000000003720: D3F30050 1D422974
	v_mfma_f32_16x16x32_fp8_fp8 v[80:83], a[118:119], a[22:23], v[80:83]// 000000003728: D3F30050 1D422D76
	buffer_load_dword v59, s[20:23], 0 offen lds               // 000000003730: E0511000 8005003B
	s_add_u32 m0, 0x400, s48                                   // 000000003738: 807C30FF 00000400
	v_mfma_f32_16x16x32_fp8_fp8 v[84:87], a[112:113], a[24:25], v[84:87]// 000000003740: D3F30054 1D523170
	v_mfma_f32_16x16x32_fp8_fp8 v[84:87], a[114:115], a[26:27], v[84:87]// 000000003748: D3F30054 1D523572
	buffer_load_dword v60, s[20:23], 0 offen lds               // 000000003750: E0511000 8005003C
	s_add_u32 m0, 0x500, s48                                   // 000000003758: 807C30FF 00000500
	v_mfma_f32_16x16x32_fp8_fp8 v[84:87], a[116:117], a[28:29], v[84:87]// 000000003760: D3F30054 1D523974
	v_mfma_f32_16x16x32_fp8_fp8 v[84:87], a[118:119], a[30:31], v[84:87]// 000000003768: D3F30054 1D523D76
	buffer_load_dword v61, s[20:23], 0 offen lds               // 000000003770: E0511000 8005003D
	s_add_u32 m0, 0x600, s48                                   // 000000003778: 807C30FF 00000600
	v_mfma_f32_16x16x32_fp8_fp8 v[88:91], a[112:113], a[32:33], v[88:91]// 000000003780: D3F30058 1D624170
	v_mfma_f32_16x16x32_fp8_fp8 v[88:91], a[114:115], a[34:35], v[88:91]// 000000003788: D3F30058 1D624572
	buffer_load_dword v62, s[20:23], 0 offen lds               // 000000003790: E0511000 8005003E
	s_add_u32 m0, 0x700, s48                                   // 000000003798: 807C30FF 00000700
	v_mfma_f32_16x16x32_fp8_fp8 v[88:91], a[116:117], a[36:37], v[88:91]// 0000000037A0: D3F30058 1D624974
	v_mfma_f32_16x16x32_fp8_fp8 v[88:91], a[118:119], a[38:39], v[88:91]// 0000000037A8: D3F30058 1D624D76
	buffer_load_dword v63, s[20:23], 0 offen lds               // 0000000037B0: E0511000 8005003F
	s_add_u32 m0, 0x800, s48                                   // 0000000037B8: 807C30FF 00000800
	v_mfma_f32_16x16x32_fp8_fp8 v[92:95], a[112:113], a[40:41], v[92:95]// 0000000037C0: D3F3005C 1D725170
	v_mfma_f32_16x16x32_fp8_fp8 v[92:95], a[114:115], a[42:43], v[92:95]// 0000000037C8: D3F3005C 1D725572
	buffer_load_dword v64, s[20:23], 0 offen lds               // 0000000037D0: E0511000 80050040
	s_add_u32 m0, 0x900, s48                                   // 0000000037D8: 807C30FF 00000900
	v_mfma_f32_16x16x32_fp8_fp8 v[92:95], a[116:117], a[44:45], v[92:95]// 0000000037E0: D3F3005C 1D725974
	v_mfma_f32_16x16x32_fp8_fp8 v[92:95], a[118:119], a[46:47], v[92:95]// 0000000037E8: D3F3005C 1D725D76
	buffer_load_dword v65, s[20:23], 0 offen lds               // 0000000037F0: E0511000 80050041
	s_add_u32 m0, 0xa00, s48                                   // 0000000037F8: 807C30FF 00000A00
	v_mfma_f32_16x16x32_fp8_fp8 v[96:99], a[112:113], a[48:49], v[96:99]// 000000003800: D3F30060 1D826170
	v_mfma_f32_16x16x32_fp8_fp8 v[96:99], a[114:115], a[50:51], v[96:99]// 000000003808: D3F30060 1D826572
	buffer_load_dword v66, s[20:23], 0 offen lds               // 000000003810: E0511000 80050042
	s_add_u32 m0, 0xb00, s48                                   // 000000003818: 807C30FF 00000B00
	s_add_u32 s60, 0x80, s80                                   // 000000003820: 803C50FF 00000080
	s_cmp_lt_u32 s60, s81                                      // 000000003828: BF0A513C
	s_cselect_b32 s83, s83, 0                                  // 00000000382C: 85538053
	v_mfma_f32_16x16x32_fp8_fp8 v[96:99], a[116:117], a[52:53], v[96:99]// 000000003830: D3F30060 1D826974
	v_mfma_f32_16x16x32_fp8_fp8 v[96:99], a[118:119], a[54:55], v[96:99]// 000000003838: D3F30060 1D826D76
	buffer_load_dword v67, s[20:23], 0 offen lds               // 000000003840: E0511000 80050043
	s_add_u32 m0, 0xc00, s48                                   // 000000003848: 807C30FF 00000C00
	buffer_load_dword v68, s[20:23], 0 offen lds               // 000000003850: E0511000 80050044
	s_add_u32 m0, 0xd00, s48                                   // 000000003858: 807C30FF 00000D00
	buffer_load_dword v69, s[20:23], 0 offen lds               // 000000003860: E0511000 80050045
	s_add_u32 m0, 0, s49                                       // 000000003868: 807C3180
	s_waitcnt vmcnt(14)                                        // 00000000386C: BF8C0F7E
	v_mfma_f32_16x16x32_fp8_fp8 v[100:103], a[120:121], a[0:1], v[100:103]// 000000003870: D3F30064 1D920178
	v_mfma_f32_16x16x32_fp8_fp8 v[100:103], a[122:123], a[2:3], v[100:103]// 000000003878: D3F30064 1D92057A
	buffer_load_dwordx4 a[112:115], v70, s[24:27], 0 offen     // 000000003880: E05C1000 80867046
	v_mfma_f32_16x16x32_fp8_fp8 v[100:103], a[124:125], a[4:5], v[100:103]// 000000003888: D3F30064 1D92097C
	v_mfma_f32_16x16x32_fp8_fp8 v[100:103], a[126:127], a[6:7], v[100:103]// 000000003890: D3F30064 1D920D7E
	ds_read_b128 a[56:59], v2 offset:14464                     // 000000003898: DBFE3880 38000002
	ds_read_b128 a[60:63], v2 offset:14528                     // 0000000038A0: DBFE38C0 3C000002
	v_mfma_f32_16x16x32_fp8_fp8 v[104:107], a[120:121], a[8:9], v[104:107]// 0000000038A8: D3F30068 1DA21178
	v_mfma_f32_16x16x32_fp8_fp8 v[104:107], a[122:123], a[10:11], v[104:107]// 0000000038B0: D3F30068 1DA2157A
	buffer_load_dwordx4 a[116:119], v70, s[24:27], 0 offen offset:1024// 0000000038B8: E05C1400 80867446
	v_mfma_f32_16x16x32_fp8_fp8 v[104:107], a[124:125], a[12:13], v[104:107]// 0000000038C0: D3F30068 1DA2197C
	v_mfma_f32_16x16x32_fp8_fp8 v[104:107], a[126:127], a[14:15], v[104:107]// 0000000038C8: D3F30068 1DA21D7E
	ds_read_b128 a[64:67], v2 offset:14976                     // 0000000038D0: DBFE3A80 40000002
	ds_read_b128 a[68:71], v2 offset:15040                     // 0000000038D8: DBFE3AC0 44000002
	v_mfma_f32_16x16x32_fp8_fp8 v[108:111], a[120:121], a[16:17], v[108:111]// 0000000038E0: D3F3006C 1DB22178
	v_mfma_f32_16x16x32_fp8_fp8 v[108:111], a[122:123], a[18:19], v[108:111]// 0000000038E8: D3F3006C 1DB2257A
	v_mfma_f32_16x16x32_fp8_fp8 v[108:111], a[124:125], a[20:21], v[108:111]// 0000000038F0: D3F3006C 1DB2297C
	v_mfma_f32_16x16x32_fp8_fp8 v[108:111], a[126:127], a[22:23], v[108:111]// 0000000038F8: D3F3006C 1DB22D7E
	ds_read_b128 a[72:75], v2 offset:15488                     // 000000003900: DBFE3C80 48000002
	ds_read_b128 a[76:79], v2 offset:15552                     // 000000003908: DBFE3CC0 4C000002
	v_mfma_f32_16x16x32_fp8_fp8 v[112:115], a[120:121], a[24:25], v[112:115]// 000000003910: D3F30070 1DC23178
	v_mfma_f32_16x16x32_fp8_fp8 v[112:115], a[122:123], a[26:27], v[112:115]// 000000003918: D3F30070 1DC2357A
	v_mfma_f32_16x16x32_fp8_fp8 v[112:115], a[124:125], a[28:29], v[112:115]// 000000003920: D3F30070 1DC2397C
	v_mfma_f32_16x16x32_fp8_fp8 v[112:115], a[126:127], a[30:31], v[112:115]// 000000003928: D3F30070 1DC23D7E
	ds_read_b128 a[80:83], v2 offset:16000                     // 000000003930: DBFE3E80 50000002
	ds_read_b128 a[84:87], v2 offset:16064                     // 000000003938: DBFE3EC0 54000002
	v_mfma_f32_16x16x32_fp8_fp8 v[116:119], a[120:121], a[32:33], v[116:119]// 000000003940: D3F30074 1DD24178
	v_mfma_f32_16x16x32_fp8_fp8 v[116:119], a[122:123], a[34:35], v[116:119]// 000000003948: D3F30074 1DD2457A
	v_mfma_f32_16x16x32_fp8_fp8 v[116:119], a[124:125], a[36:37], v[116:119]// 000000003950: D3F30074 1DD2497C
	v_mfma_f32_16x16x32_fp8_fp8 v[116:119], a[126:127], a[38:39], v[116:119]// 000000003958: D3F30074 1DD24D7E
	ds_read_b128 a[88:91], v2 offset:16512                     // 000000003960: DBFE4080 58000002
	ds_read_b128 a[92:95], v2 offset:16576                     // 000000003968: DBFE40C0 5C000002
	v_mfma_f32_16x16x32_fp8_fp8 v[120:123], a[120:121], a[40:41], v[120:123]// 000000003970: D3F30078 1DE25178
	v_mfma_f32_16x16x32_fp8_fp8 v[120:123], a[122:123], a[42:43], v[120:123]// 000000003978: D3F30078 1DE2557A
	v_mfma_f32_16x16x32_fp8_fp8 v[120:123], a[124:125], a[44:45], v[120:123]// 000000003980: D3F30078 1DE2597C
	s_add_u32 s60, 0x180, s80                                  // 000000003988: 803C50FF 00000180
	s_cmp_lt_u32 s60, s81                                      // 000000003990: BF0A513C
	s_cselect_b32 s57, s57, 0                                  // 000000003994: 85398039
	v_mfma_f32_16x16x32_fp8_fp8 v[120:123], a[126:127], a[46:47], v[120:123]// 000000003998: D3F30078 1DE25D7E
	ds_read_b128 a[96:99], v2 offset:17024                     // 0000000039A0: DBFE4280 60000002
	ds_read_b128 a[100:103], v2 offset:17088                   // 0000000039A8: DBFE42C0 64000002
	s_add_u32 s60, 0x100, s80                                  // 0000000039B0: 803C50FF 00000100
	s_cmp_lt_u32 s60, s81                                      // 0000000039B8: BF0A513C
	s_cselect_b32 s58, s58, 0                                  // 0000000039BC: 853A803A
	v_mfma_f32_16x16x32_fp8_fp8 v[124:127], a[120:121], a[48:49], v[124:127]// 0000000039C0: D3F3007C 1DF26178
	s_add_u32 s24, s58, s24                                    // 0000000039C8: 8018183A
	s_addc_u32 s25, 0, s25                                     // 0000000039CC: 82191980
	v_mfma_f32_16x16x32_fp8_fp8 v[124:127], a[122:123], a[50:51], v[124:127]// 0000000039D0: D3F3007C 1DF2657A
	s_add_u32 s20, s57, s20                                    // 0000000039D8: 80141439
	s_addc_u32 s21, 0, s21                                     // 0000000039DC: 82151580
	v_mfma_f32_16x16x32_fp8_fp8 v[124:127], a[124:125], a[52:53], v[124:127]// 0000000039E0: D3F3007C 1DF2697C
	s_add_u32 s84, s83, s84                                    // 0000000039E8: 80545453
	s_addc_u32 s85, 0, s85                                     // 0000000039EC: 82555580
	v_mfma_f32_16x16x32_fp8_fp8 v[124:127], a[126:127], a[54:55], v[124:127]// 0000000039F0: D3F3007C 1DF26D7E
	ds_read_b128 a[104:107], v2 offset:17536                   // 0000000039F8: DBFE4480 68000002
	ds_read_b128 a[108:111], v2 offset:17600                   // 000000003A00: DBFE44C0 6C000002
	s_addk_i32 s80, 0x80                                       // 000000003A08: B7500080
	s_cmp_lt_i32 s80, s81                                      // 000000003A0C: BF045150
	s_cbranch_scc0 label_04E9                                  // 000000003A10: BF8400E4
	s_waitcnt vmcnt(0) lgkmcnt(0)                              // 000000003A14: BF8C0070
	s_barrier                                                  // 000000003A18: BF8A0000
	v_mfma_f32_16x16x32_fp8_fp8 v[72:75], a[112:113], a[56:57], v[72:75]// 000000003A1C: D3F30048 1D227170
	v_mfma_f32_16x16x32_fp8_fp8 v[72:75], a[114:115], a[58:59], v[72:75]// 000000003A24: D3F30048 1D227572
	buffer_load_dwordx4 a[120:123], v70, s[84:87], 0 offen     // 000000003A2C: E05C1000 80957846
	v_mfma_f32_16x16x32_fp8_fp8 v[72:75], a[116:117], a[60:61], v[72:75]// 000000003A34: D3F30048 1D227974
	v_mfma_f32_16x16x32_fp8_fp8 v[72:75], a[118:119], a[62:63], v[72:75]// 000000003A3C: D3F30048 1D227D76
	v_mfma_f32_16x16x32_fp8_fp8 v[76:79], a[112:113], a[64:65], v[76:79]// 000000003A44: D3F3004C 1D328170
	v_mfma_f32_16x16x32_fp8_fp8 v[76:79], a[114:115], a[66:67], v[76:79]// 000000003A4C: D3F3004C 1D328572
	buffer_load_dwordx4 a[124:127], v70, s[84:87], 0 offen offset:1024// 000000003A54: E05C1400 80957C46
	buffer_load_dword v56, s[20:23], 0 offen lds               // 000000003A5C: E0511000 80050038
	s_add_u32 m0, 0x100, s49                                   // 000000003A64: 807C31FF 00000100
	v_mfma_f32_16x16x32_fp8_fp8 v[76:79], a[116:117], a[68:69], v[76:79]// 000000003A6C: D3F3004C 1D328974
	v_mfma_f32_16x16x32_fp8_fp8 v[76:79], a[118:119], a[70:71], v[76:79]// 000000003A74: D3F3004C 1D328D76
	buffer_load_dword v57, s[20:23], 0 offen lds               // 000000003A7C: E0511000 80050039
	s_add_u32 m0, 0x200, s49                                   // 000000003A84: 807C31FF 00000200
	v_mfma_f32_16x16x32_fp8_fp8 v[80:83], a[112:113], a[72:73], v[80:83]// 000000003A8C: D3F30050 1D429170
	v_mfma_f32_16x16x32_fp8_fp8 v[80:83], a[114:115], a[74:75], v[80:83]// 000000003A94: D3F30050 1D429572
	buffer_load_dword v58, s[20:23], 0 offen lds               // 000000003A9C: E0511000 8005003A
	s_add_u32 m0, 0x300, s49                                   // 000000003AA4: 807C31FF 00000300
	v_mfma_f32_16x16x32_fp8_fp8 v[80:83], a[116:117], a[76:77], v[80:83]// 000000003AAC: D3F30050 1D429974
	v_mfma_f32_16x16x32_fp8_fp8 v[80:83], a[118:119], a[78:79], v[80:83]// 000000003AB4: D3F30050 1D429D76
	buffer_load_dword v59, s[20:23], 0 offen lds               // 000000003ABC: E0511000 8005003B
	s_add_u32 m0, 0x400, s49                                   // 000000003AC4: 807C31FF 00000400
	v_mfma_f32_16x16x32_fp8_fp8 v[84:87], a[112:113], a[80:81], v[84:87]// 000000003ACC: D3F30054 1D52A170
	v_mfma_f32_16x16x32_fp8_fp8 v[84:87], a[114:115], a[82:83], v[84:87]// 000000003AD4: D3F30054 1D52A572
	buffer_load_dword v60, s[20:23], 0 offen lds               // 000000003ADC: E0511000 8005003C
	s_add_u32 m0, 0x500, s49                                   // 000000003AE4: 807C31FF 00000500
	v_mfma_f32_16x16x32_fp8_fp8 v[84:87], a[116:117], a[84:85], v[84:87]// 000000003AEC: D3F30054 1D52A974
	v_mfma_f32_16x16x32_fp8_fp8 v[84:87], a[118:119], a[86:87], v[84:87]// 000000003AF4: D3F30054 1D52AD76
	buffer_load_dword v61, s[20:23], 0 offen lds               // 000000003AFC: E0511000 8005003D
	s_add_u32 m0, 0x600, s49                                   // 000000003B04: 807C31FF 00000600
	v_mfma_f32_16x16x32_fp8_fp8 v[88:91], a[112:113], a[88:89], v[88:91]// 000000003B0C: D3F30058 1D62B170
	v_mfma_f32_16x16x32_fp8_fp8 v[88:91], a[114:115], a[90:91], v[88:91]// 000000003B14: D3F30058 1D62B572
	buffer_load_dword v62, s[20:23], 0 offen lds               // 000000003B1C: E0511000 8005003E
	s_add_u32 m0, 0x700, s49                                   // 000000003B24: 807C31FF 00000700
	v_mfma_f32_16x16x32_fp8_fp8 v[88:91], a[116:117], a[92:93], v[88:91]// 000000003B2C: D3F30058 1D62B974
	v_mfma_f32_16x16x32_fp8_fp8 v[88:91], a[118:119], a[94:95], v[88:91]// 000000003B34: D3F30058 1D62BD76
	buffer_load_dword v63, s[20:23], 0 offen lds               // 000000003B3C: E0511000 8005003F
	s_add_u32 m0, 0x800, s49                                   // 000000003B44: 807C31FF 00000800
	v_mfma_f32_16x16x32_fp8_fp8 v[92:95], a[112:113], a[96:97], v[92:95]// 000000003B4C: D3F3005C 1D72C170
	v_mfma_f32_16x16x32_fp8_fp8 v[92:95], a[114:115], a[98:99], v[92:95]// 000000003B54: D3F3005C 1D72C572
	buffer_load_dword v64, s[20:23], 0 offen lds               // 000000003B5C: E0511000 80050040
	s_add_u32 m0, 0x900, s49                                   // 000000003B64: 807C31FF 00000900
	v_mfma_f32_16x16x32_fp8_fp8 v[92:95], a[116:117], a[100:101], v[92:95]// 000000003B6C: D3F3005C 1D72C974
	v_mfma_f32_16x16x32_fp8_fp8 v[92:95], a[118:119], a[102:103], v[92:95]// 000000003B74: D3F3005C 1D72CD76
	buffer_load_dword v65, s[20:23], 0 offen lds               // 000000003B7C: E0511000 80050041
	s_add_u32 m0, 0xa00, s49                                   // 000000003B84: 807C31FF 00000A00
	v_mfma_f32_16x16x32_fp8_fp8 v[96:99], a[112:113], a[104:105], v[96:99]// 000000003B8C: D3F30060 1D82D170
	v_mfma_f32_16x16x32_fp8_fp8 v[96:99], a[114:115], a[106:107], v[96:99]// 000000003B94: D3F30060 1D82D572
	buffer_load_dword v66, s[20:23], 0 offen lds               // 000000003B9C: E0511000 80050042
	s_add_u32 m0, 0xb00, s49                                   // 000000003BA4: 807C31FF 00000B00
	s_add_u32 s60, 0x80, s80                                   // 000000003BAC: 803C50FF 00000080
	s_cmp_lt_u32 s60, s81                                      // 000000003BB4: BF0A513C
	s_cselect_b32 s83, s83, 0                                  // 000000003BB8: 85538053
	v_mfma_f32_16x16x32_fp8_fp8 v[96:99], a[116:117], a[108:109], v[96:99]// 000000003BBC: D3F30060 1D82D974
	v_mfma_f32_16x16x32_fp8_fp8 v[96:99], a[118:119], a[110:111], v[96:99]// 000000003BC4: D3F30060 1D82DD76
	buffer_load_dword v67, s[20:23], 0 offen lds               // 000000003BCC: E0511000 80050043
	s_add_u32 m0, 0xc00, s49                                   // 000000003BD4: 807C31FF 00000C00
	buffer_load_dword v68, s[20:23], 0 offen lds               // 000000003BDC: E0511000 80050044
	s_add_u32 m0, 0xd00, s49                                   // 000000003BE4: 807C31FF 00000D00
	buffer_load_dword v69, s[20:23], 0 offen lds               // 000000003BEC: E0511000 80050045
	s_add_u32 m0, 0, s48                                       // 000000003BF4: 807C3080
	s_waitcnt vmcnt(14)                                        // 000000003BF8: BF8C0F7E
	v_mfma_f32_16x16x32_fp8_fp8 v[100:103], a[120:121], a[56:57], v[100:103]// 000000003BFC: D3F30064 1D927178
	v_mfma_f32_16x16x32_fp8_fp8 v[100:103], a[122:123], a[58:59], v[100:103]// 000000003C04: D3F30064 1D92757A
	buffer_load_dwordx4 a[112:115], v70, s[24:27], 0 offen     // 000000003C0C: E05C1000 80867046
	v_mfma_f32_16x16x32_fp8_fp8 v[100:103], a[124:125], a[60:61], v[100:103]// 000000003C14: D3F30064 1D92797C
	v_mfma_f32_16x16x32_fp8_fp8 v[100:103], a[126:127], a[62:63], v[100:103]// 000000003C1C: D3F30064 1D927D7E
	ds_read_b128 a[0:3], v2                                    // 000000003C24: DBFE0000 00000002
	ds_read_b128 a[4:7], v2 offset:64                          // 000000003C2C: DBFE0040 04000002
	v_mfma_f32_16x16x32_fp8_fp8 v[104:107], a[120:121], a[64:65], v[104:107]// 000000003C34: D3F30068 1DA28178
	v_mfma_f32_16x16x32_fp8_fp8 v[104:107], a[122:123], a[66:67], v[104:107]// 000000003C3C: D3F30068 1DA2857A
	buffer_load_dwordx4 a[116:119], v70, s[24:27], 0 offen offset:1024// 000000003C44: E05C1400 80867446
	v_mfma_f32_16x16x32_fp8_fp8 v[104:107], a[124:125], a[68:69], v[104:107]// 000000003C4C: D3F30068 1DA2897C
	v_mfma_f32_16x16x32_fp8_fp8 v[104:107], a[126:127], a[70:71], v[104:107]// 000000003C54: D3F30068 1DA28D7E
	ds_read_b128 a[8:11], v2 offset:512                        // 000000003C5C: DBFE0200 08000002
	ds_read_b128 a[12:15], v2 offset:576                       // 000000003C64: DBFE0240 0C000002
	v_mfma_f32_16x16x32_fp8_fp8 v[108:111], a[120:121], a[72:73], v[108:111]// 000000003C6C: D3F3006C 1DB29178
	v_mfma_f32_16x16x32_fp8_fp8 v[108:111], a[122:123], a[74:75], v[108:111]// 000000003C74: D3F3006C 1DB2957A
	v_mfma_f32_16x16x32_fp8_fp8 v[108:111], a[124:125], a[76:77], v[108:111]// 000000003C7C: D3F3006C 1DB2997C
	v_mfma_f32_16x16x32_fp8_fp8 v[108:111], a[126:127], a[78:79], v[108:111]// 000000003C84: D3F3006C 1DB29D7E
	ds_read_b128 a[16:19], v2 offset:1024                      // 000000003C8C: DBFE0400 10000002
	ds_read_b128 a[20:23], v2 offset:1088                      // 000000003C94: DBFE0440 14000002
	v_mfma_f32_16x16x32_fp8_fp8 v[112:115], a[120:121], a[80:81], v[112:115]// 000000003C9C: D3F30070 1DC2A178
	v_mfma_f32_16x16x32_fp8_fp8 v[112:115], a[122:123], a[82:83], v[112:115]// 000000003CA4: D3F30070 1DC2A57A
	v_mfma_f32_16x16x32_fp8_fp8 v[112:115], a[124:125], a[84:85], v[112:115]// 000000003CAC: D3F30070 1DC2A97C
	v_mfma_f32_16x16x32_fp8_fp8 v[112:115], a[126:127], a[86:87], v[112:115]// 000000003CB4: D3F30070 1DC2AD7E
	ds_read_b128 a[24:27], v2 offset:1536                      // 000000003CBC: DBFE0600 18000002
	ds_read_b128 a[28:31], v2 offset:1600                      // 000000003CC4: DBFE0640 1C000002
	v_mfma_f32_16x16x32_fp8_fp8 v[116:119], a[120:121], a[88:89], v[116:119]// 000000003CCC: D3F30074 1DD2B178
	v_mfma_f32_16x16x32_fp8_fp8 v[116:119], a[122:123], a[90:91], v[116:119]// 000000003CD4: D3F30074 1DD2B57A
	v_mfma_f32_16x16x32_fp8_fp8 v[116:119], a[124:125], a[92:93], v[116:119]// 000000003CDC: D3F30074 1DD2B97C
	v_mfma_f32_16x16x32_fp8_fp8 v[116:119], a[126:127], a[94:95], v[116:119]// 000000003CE4: D3F30074 1DD2BD7E
	ds_read_b128 a[32:35], v2 offset:2048                      // 000000003CEC: DBFE0800 20000002
	ds_read_b128 a[36:39], v2 offset:2112                      // 000000003CF4: DBFE0840 24000002
	v_mfma_f32_16x16x32_fp8_fp8 v[120:123], a[120:121], a[96:97], v[120:123]// 000000003CFC: D3F30078 1DE2C178
	v_mfma_f32_16x16x32_fp8_fp8 v[120:123], a[122:123], a[98:99], v[120:123]// 000000003D04: D3F30078 1DE2C57A
	v_mfma_f32_16x16x32_fp8_fp8 v[120:123], a[124:125], a[100:101], v[120:123]// 000000003D0C: D3F30078 1DE2C97C
	s_add_u32 s60, 0x180, s80                                  // 000000003D14: 803C50FF 00000180
	s_cmp_lt_u32 s60, s81                                      // 000000003D1C: BF0A513C
	s_cselect_b32 s57, s57, 0                                  // 000000003D20: 85398039
	v_mfma_f32_16x16x32_fp8_fp8 v[120:123], a[126:127], a[102:103], v[120:123]// 000000003D24: D3F30078 1DE2CD7E
	ds_read_b128 a[40:43], v2 offset:2560                      // 000000003D2C: DBFE0A00 28000002
	ds_read_b128 a[44:47], v2 offset:2624                      // 000000003D34: DBFE0A40 2C000002
	s_add_u32 s60, 0x100, s80                                  // 000000003D3C: 803C50FF 00000100
	s_cmp_lt_u32 s60, s81                                      // 000000003D44: BF0A513C
	s_cselect_b32 s58, s58, 0                                  // 000000003D48: 853A803A
	v_mfma_f32_16x16x32_fp8_fp8 v[124:127], a[120:121], a[104:105], v[124:127]// 000000003D4C: D3F3007C 1DF2D178
	s_add_u32 s24, s58, s24                                    // 000000003D54: 8018183A
	s_addc_u32 s25, 0, s25                                     // 000000003D58: 82191980
	v_mfma_f32_16x16x32_fp8_fp8 v[124:127], a[122:123], a[106:107], v[124:127]// 000000003D5C: D3F3007C 1DF2D57A
	s_add_u32 s20, s57, s20                                    // 000000003D64: 80141439
	s_addc_u32 s21, 0, s21                                     // 000000003D68: 82151580
	v_mfma_f32_16x16x32_fp8_fp8 v[124:127], a[124:125], a[108:109], v[124:127]// 000000003D6C: D3F3007C 1DF2D97C
	s_add_u32 s84, s83, s84                                    // 000000003D74: 80545453
	s_addc_u32 s85, 0, s85                                     // 000000003D78: 82555580
	v_mfma_f32_16x16x32_fp8_fp8 v[124:127], a[126:127], a[110:111], v[124:127]// 000000003D7C: D3F3007C 1DF2DD7E
	ds_read_b128 a[48:51], v2 offset:3072                      // 000000003D84: DBFE0C00 30000002
	ds_read_b128 a[52:55], v2 offset:3136                      // 000000003D8C: DBFE0C40 34000002
	s_addk_i32 s80, 0x80                                       // 000000003D94: B7500080
	s_cmp_lt_i32 s80, s81                                      // 000000003D98: BF045150
	s_cbranch_scc0 label_04E9                                  // 000000003D9C: BF840001
	s_branch label_0322                                        // 000000003DA0: BF82FE39

0000000000003da4 <label_04E9>:
	v_mul_f32_dpp v72, v24, v72 row_newbcast:0 row_mask:0xf bank_mask:0xf// 000000003DA4: 0A9090FA FF015018
	v_mul_f32_dpp v73, v24, v73 row_newbcast:1 row_mask:0xf bank_mask:0xf// 000000003DAC: 0A9292FA FF015118
	v_mul_f32_dpp v74, v24, v74 row_newbcast:2 row_mask:0xf bank_mask:0xf// 000000003DB4: 0A9494FA FF015218
	v_mul_f32_dpp v75, v24, v75 row_newbcast:3 row_mask:0xf bank_mask:0xf// 000000003DBC: 0A9696FA FF015318
	v_mul_f32_dpp v76, v24, v76 row_newbcast:0 row_mask:0xf bank_mask:0xf// 000000003DC4: 0A9898FA FF015018
	v_mul_f32_dpp v77, v24, v77 row_newbcast:1 row_mask:0xf bank_mask:0xf// 000000003DCC: 0A9A9AFA FF015118
	v_mul_f32_dpp v78, v24, v78 row_newbcast:2 row_mask:0xf bank_mask:0xf// 000000003DD4: 0A9C9CFA FF015218
	v_mul_f32_dpp v79, v24, v79 row_newbcast:3 row_mask:0xf bank_mask:0xf// 000000003DDC: 0A9E9EFA FF015318
	v_mul_f32_dpp v80, v24, v80 row_newbcast:0 row_mask:0xf bank_mask:0xf// 000000003DE4: 0AA0A0FA FF015018
	v_mul_f32_dpp v81, v24, v81 row_newbcast:1 row_mask:0xf bank_mask:0xf// 000000003DEC: 0AA2A2FA FF015118
	v_mul_f32_dpp v82, v24, v82 row_newbcast:2 row_mask:0xf bank_mask:0xf// 000000003DF4: 0AA4A4FA FF015218
	v_mul_f32_dpp v83, v24, v83 row_newbcast:3 row_mask:0xf bank_mask:0xf// 000000003DFC: 0AA6A6FA FF015318
	v_mul_f32_dpp v84, v24, v84 row_newbcast:0 row_mask:0xf bank_mask:0xf// 000000003E04: 0AA8A8FA FF015018
	v_mul_f32_dpp v85, v24, v85 row_newbcast:1 row_mask:0xf bank_mask:0xf// 000000003E0C: 0AAAAAFA FF015118
	v_mul_f32_dpp v86, v24, v86 row_newbcast:2 row_mask:0xf bank_mask:0xf// 000000003E14: 0AACACFA FF015218
	v_mul_f32_dpp v87, v24, v87 row_newbcast:3 row_mask:0xf bank_mask:0xf// 000000003E1C: 0AAEAEFA FF015318
	v_mul_f32_dpp v88, v24, v88 row_newbcast:0 row_mask:0xf bank_mask:0xf// 000000003E24: 0AB0B0FA FF015018
	v_mul_f32_dpp v89, v24, v89 row_newbcast:1 row_mask:0xf bank_mask:0xf// 000000003E2C: 0AB2B2FA FF015118
	v_mul_f32_dpp v90, v24, v90 row_newbcast:2 row_mask:0xf bank_mask:0xf// 000000003E34: 0AB4B4FA FF015218
	v_mul_f32_dpp v91, v24, v91 row_newbcast:3 row_mask:0xf bank_mask:0xf// 000000003E3C: 0AB6B6FA FF015318
	v_mul_f32_dpp v92, v24, v92 row_newbcast:0 row_mask:0xf bank_mask:0xf// 000000003E44: 0AB8B8FA FF015018
	v_mul_f32_dpp v93, v24, v93 row_newbcast:1 row_mask:0xf bank_mask:0xf// 000000003E4C: 0ABABAFA FF015118
	v_mul_f32_dpp v94, v24, v94 row_newbcast:2 row_mask:0xf bank_mask:0xf// 000000003E54: 0ABCBCFA FF015218
	v_mul_f32_dpp v95, v24, v95 row_newbcast:3 row_mask:0xf bank_mask:0xf// 000000003E5C: 0ABEBEFA FF015318
	v_mul_f32_dpp v96, v24, v96 row_newbcast:0 row_mask:0xf bank_mask:0xf// 000000003E64: 0AC0C0FA FF015018
	v_mul_f32_dpp v97, v24, v97 row_newbcast:1 row_mask:0xf bank_mask:0xf// 000000003E6C: 0AC2C2FA FF015118
	v_mul_f32_dpp v98, v24, v98 row_newbcast:2 row_mask:0xf bank_mask:0xf// 000000003E74: 0AC4C4FA FF015218
	v_mul_f32_dpp v99, v24, v99 row_newbcast:3 row_mask:0xf bank_mask:0xf// 000000003E7C: 0AC6C6FA FF015318
	v_mul_f32_dpp v100, v26, v100 row_newbcast:0 row_mask:0xf bank_mask:0xf// 000000003E84: 0AC8C8FA FF01501A
	v_mul_f32_dpp v101, v26, v101 row_newbcast:1 row_mask:0xf bank_mask:0xf// 000000003E8C: 0ACACAFA FF01511A
	v_mul_f32_dpp v102, v26, v102 row_newbcast:2 row_mask:0xf bank_mask:0xf// 000000003E94: 0ACCCCFA FF01521A
	v_mul_f32_dpp v103, v26, v103 row_newbcast:3 row_mask:0xf bank_mask:0xf// 000000003E9C: 0ACECEFA FF01531A
	v_mul_f32_dpp v104, v26, v104 row_newbcast:0 row_mask:0xf bank_mask:0xf// 000000003EA4: 0AD0D0FA FF01501A
	v_mul_f32_dpp v105, v26, v105 row_newbcast:1 row_mask:0xf bank_mask:0xf// 000000003EAC: 0AD2D2FA FF01511A
	v_mul_f32_dpp v106, v26, v106 row_newbcast:2 row_mask:0xf bank_mask:0xf// 000000003EB4: 0AD4D4FA FF01521A
	v_mul_f32_dpp v107, v26, v107 row_newbcast:3 row_mask:0xf bank_mask:0xf// 000000003EBC: 0AD6D6FA FF01531A
	v_mul_f32_dpp v108, v26, v108 row_newbcast:0 row_mask:0xf bank_mask:0xf// 000000003EC4: 0AD8D8FA FF01501A
	v_mul_f32_dpp v109, v26, v109 row_newbcast:1 row_mask:0xf bank_mask:0xf// 000000003ECC: 0ADADAFA FF01511A
	v_mul_f32_dpp v110, v26, v110 row_newbcast:2 row_mask:0xf bank_mask:0xf// 000000003ED4: 0ADCDCFA FF01521A
	v_mul_f32_dpp v111, v26, v111 row_newbcast:3 row_mask:0xf bank_mask:0xf// 000000003EDC: 0ADEDEFA FF01531A
	v_mul_f32_dpp v112, v26, v112 row_newbcast:0 row_mask:0xf bank_mask:0xf// 000000003EE4: 0AE0E0FA FF01501A
	v_mul_f32_dpp v113, v26, v113 row_newbcast:1 row_mask:0xf bank_mask:0xf// 000000003EEC: 0AE2E2FA FF01511A
	v_mul_f32_dpp v114, v26, v114 row_newbcast:2 row_mask:0xf bank_mask:0xf// 000000003EF4: 0AE4E4FA FF01521A
	v_mul_f32_dpp v115, v26, v115 row_newbcast:3 row_mask:0xf bank_mask:0xf// 000000003EFC: 0AE6E6FA FF01531A
	v_mul_f32_dpp v116, v26, v116 row_newbcast:0 row_mask:0xf bank_mask:0xf// 000000003F04: 0AE8E8FA FF01501A
	v_mul_f32_dpp v117, v26, v117 row_newbcast:1 row_mask:0xf bank_mask:0xf// 000000003F0C: 0AEAEAFA FF01511A
	v_mul_f32_dpp v118, v26, v118 row_newbcast:2 row_mask:0xf bank_mask:0xf// 000000003F14: 0AECECFA FF01521A
	v_mul_f32_dpp v119, v26, v119 row_newbcast:3 row_mask:0xf bank_mask:0xf// 000000003F1C: 0AEEEEFA FF01531A
	v_mul_f32_dpp v120, v26, v120 row_newbcast:0 row_mask:0xf bank_mask:0xf// 000000003F24: 0AF0F0FA FF01501A
	v_mul_f32_dpp v121, v26, v121 row_newbcast:1 row_mask:0xf bank_mask:0xf// 000000003F2C: 0AF2F2FA FF01511A
	v_mul_f32_dpp v122, v26, v122 row_newbcast:2 row_mask:0xf bank_mask:0xf// 000000003F34: 0AF4F4FA FF01521A
	v_mul_f32_dpp v123, v26, v123 row_newbcast:3 row_mask:0xf bank_mask:0xf// 000000003F3C: 0AF6F6FA FF01531A
	v_mul_f32_dpp v124, v26, v124 row_newbcast:0 row_mask:0xf bank_mask:0xf// 000000003F44: 0AF8F8FA FF01501A
	v_mul_f32_dpp v125, v26, v125 row_newbcast:1 row_mask:0xf bank_mask:0xf// 000000003F4C: 0AFAFAFA FF01511A
	v_mul_f32_dpp v126, v26, v126 row_newbcast:2 row_mask:0xf bank_mask:0xf// 000000003F54: 0AFCFCFA FF01521A
	v_mul_f32_dpp v127, v26, v127 row_newbcast:3 row_mask:0xf bank_mask:0xf// 000000003F5C: 0AFEFEFA FF01531A
	v_mul_f32_e32 v35, v35, v128                               // 000000003F64: 0A470123
	v_mov_b32_e32 v4, v35                                      // 000000003F68: 7E080323
	v_mov_b32_e32 v5, v4                                       // 000000003F6C: 7E0A0304
	v_pk_mul_f32 v[72:73], v[4:5], v[72:73]                    // 000000003F70: D3B14048 18029104
	v_pk_mul_f32 v[100:101], v[4:5], v[100:101]                // 000000003F78: D3B14064 1802C904
	v_pk_mul_f32 v[74:75], v[4:5], v[74:75]                    // 000000003F80: D3B1404A 18029504
	v_pk_mul_f32 v[102:103], v[4:5], v[102:103]                // 000000003F88: D3B14066 1802CD04
	v_mul_f32_e32 v36, v36, v129                               // 000000003F90: 0A490324
	v_mov_b32_e32 v4, v36                                      // 000000003F94: 7E080324
	v_mov_b32_e32 v5, v4                                       // 000000003F98: 7E0A0304
	v_pk_mul_f32 v[76:77], v[4:5], v[76:77]                    // 000000003F9C: D3B1404C 18029904
	v_pk_mul_f32 v[104:105], v[4:5], v[104:105]                // 000000003FA4: D3B14068 1802D104
	v_pk_mul_f32 v[78:79], v[4:5], v[78:79]                    // 000000003FAC: D3B1404E 18029D04
	v_pk_mul_f32 v[106:107], v[4:5], v[106:107]                // 000000003FB4: D3B1406A 1802D504
	v_mul_f32_e32 v37, v37, v130                               // 000000003FBC: 0A4B0525
	v_mov_b32_e32 v4, v37                                      // 000000003FC0: 7E080325
	v_mov_b32_e32 v5, v4                                       // 000000003FC4: 7E0A0304
	v_pk_mul_f32 v[80:81], v[4:5], v[80:81]                    // 000000003FC8: D3B14050 1802A104
	v_pk_mul_f32 v[108:109], v[4:5], v[108:109]                // 000000003FD0: D3B1406C 1802D904
	v_pk_mul_f32 v[82:83], v[4:5], v[82:83]                    // 000000003FD8: D3B14052 1802A504
	v_pk_mul_f32 v[110:111], v[4:5], v[110:111]                // 000000003FE0: D3B1406E 1802DD04
	v_mul_f32_e32 v38, v38, v131                               // 000000003FE8: 0A4D0726
	v_mov_b32_e32 v4, v38                                      // 000000003FEC: 7E080326
	v_mov_b32_e32 v5, v4                                       // 000000003FF0: 7E0A0304
	v_pk_mul_f32 v[84:85], v[4:5], v[84:85]                    // 000000003FF4: D3B14054 1802A904
	v_pk_mul_f32 v[112:113], v[4:5], v[112:113]                // 000000003FFC: D3B14070 1802E104
	v_pk_mul_f32 v[86:87], v[4:5], v[86:87]                    // 000000004004: D3B14056 1802AD04
	v_pk_mul_f32 v[114:115], v[4:5], v[114:115]                // 00000000400C: D3B14072 1802E504
	v_mul_f32_e32 v39, v39, v132                               // 000000004014: 0A4F0927
	v_mov_b32_e32 v4, v39                                      // 000000004018: 7E080327
	v_mov_b32_e32 v5, v4                                       // 00000000401C: 7E0A0304
	v_pk_mul_f32 v[88:89], v[4:5], v[88:89]                    // 000000004020: D3B14058 1802B104
	v_pk_mul_f32 v[116:117], v[4:5], v[116:117]                // 000000004028: D3B14074 1802E904
	v_pk_mul_f32 v[90:91], v[4:5], v[90:91]                    // 000000004030: D3B1405A 1802B504
	v_pk_mul_f32 v[118:119], v[4:5], v[118:119]                // 000000004038: D3B14076 1802ED04
	v_mul_f32_e32 v40, v40, v133                               // 000000004040: 0A510B28
	v_mov_b32_e32 v4, v40                                      // 000000004044: 7E080328
	v_mov_b32_e32 v5, v4                                       // 000000004048: 7E0A0304
	v_pk_mul_f32 v[92:93], v[4:5], v[92:93]                    // 00000000404C: D3B1405C 1802B904
	v_pk_mul_f32 v[120:121], v[4:5], v[120:121]                // 000000004054: D3B14078 1802F104
	v_pk_mul_f32 v[94:95], v[4:5], v[94:95]                    // 00000000405C: D3B1405E 1802BD04
	v_pk_mul_f32 v[122:123], v[4:5], v[122:123]                // 000000004064: D3B1407A 1802F504
	v_mul_f32_e32 v41, v41, v134                               // 00000000406C: 0A530D29
	v_mov_b32_e32 v4, v41                                      // 000000004070: 7E080329
	v_mov_b32_e32 v5, v4                                       // 000000004074: 7E0A0304
	v_pk_mul_f32 v[96:97], v[4:5], v[96:97]                    // 000000004078: D3B14060 1802C104
	v_pk_mul_f32 v[124:125], v[4:5], v[124:125]                // 000000004080: D3B1407C 1802F904
	v_pk_mul_f32 v[98:99], v[4:5], v[98:99]                    // 000000004088: D3B14062 1802C504
	v_pk_mul_f32 v[126:127], v[4:5], v[126:127]                // 000000004090: D3B1407E 1802FD04
	s_cmp_eq_u32 s88, 0                                        // 000000004098: BF068058
	s_cbranch_scc0 label_0ADF                                  // 00000000409C: BF840537
	s_cmp_eq_u32 s89, 0                                        // 0000000040A0: BF068059
	s_cbranch_scc1 label_06C7                                  // 0000000040A4: BF85011D
	v_mov_b32_e32 v8, v1                                       // 0000000040A8: 7E100301
	v_mov_b32_e32 v9, v1                                       // 0000000040AC: 7E120301
	s_mov_b32 s60, s6                                          // 0000000040B0: BEBC0006
	s_mov_b32 s61, s6                                          // 0000000040B4: BEBD0006
	v_pk_mul_f32 v[4:5], v[72:73], v[72:73]                    // 0000000040B8: D3B14004 18029148
	v_pk_mul_f32 v[6:7], v[74:75], v[74:75]                    // 0000000040C0: D3B14006 1802954A
	v_pk_fma_f32 v[4:5], v[4:5], s[78:79], v[8:9]              // 0000000040C8: D3B04004 1C209D04
	v_pk_fma_f32 v[6:7], v[6:7], s[78:79], v[8:9]              // 0000000040D0: D3B04006 1C209D06
	v_pk_mul_f32 v[4:5], v[4:5], v[72:73]                      // 0000000040D8: D3B14004 18029104
	v_pk_mul_f32 v[6:7], v[6:7], v[74:75]                      // 0000000040E0: D3B14006 18029506
	v_pk_mul_f32 v[4:5], v[4:5], s[60:61]                      // 0000000040E8: D3B14004 18007904
	v_pk_mul_f32 v[6:7], v[6:7], s[60:61]                      // 0000000040F0: D3B14006 18007906
	v_exp_f32_e32 v4, v4                                       // 0000000040F8: 7E084104
	v_exp_f32_e32 v5, v5                                       // 0000000040FC: 7E0A4105
	v_exp_f32_e32 v6, v6                                       // 000000004100: 7E0C4106
	v_exp_f32_e32 v7, v7                                       // 000000004104: 7E0E4107
	v_add_f32_e64 v4, v4, 1.0                                  // 000000004108: D1010004 0001E504
	v_add_f32_e64 v5, v5, 1.0                                  // 000000004110: D1010005 0001E505
	v_add_f32_e64 v6, v6, 1.0                                  // 000000004118: D1010006 0001E506
	v_add_f32_e64 v7, v7, 1.0                                  // 000000004120: D1010007 0001E507
	v_rcp_f32_e32 v4, v4                                       // 000000004128: 7E084504
	v_rcp_f32_e32 v5, v5                                       // 00000000412C: 7E0A4505
	v_rcp_f32_e32 v6, v6                                       // 000000004130: 7E0C4506
	v_rcp_f32_e32 v7, v7                                       // 000000004134: 7E0E4507
	v_mul_f32_e32 v72, v72, v4                                 // 000000004138: 0A900948
	v_mul_f32_e32 v73, v73, v5                                 // 00000000413C: 0A920B49
	v_mul_f32_e32 v74, v74, v6                                 // 000000004140: 0A940D4A
	v_mul_f32_e32 v75, v75, v7                                 // 000000004144: 0A960F4B
	v_mul_f32_e32 v72, v72, v100                               // 000000004148: 0A90C948
	v_mul_f32_e32 v73, v73, v101                               // 00000000414C: 0A92CB49
	v_mul_f32_e32 v74, v74, v102                               // 000000004150: 0A94CD4A
	v_mul_f32_e32 v75, v75, v103                               // 000000004154: 0A96CF4B
	v_pk_mul_f32 v[4:5], v[76:77], v[76:77]                    // 000000004158: D3B14004 1802994C
	v_pk_mul_f32 v[6:7], v[78:79], v[78:79]                    // 000000004160: D3B14006 18029D4E
	v_pk_fma_f32 v[4:5], v[4:5], s[78:79], v[8:9]              // 000000004168: D3B04004 1C209D04
	v_pk_fma_f32 v[6:7], v[6:7], s[78:79], v[8:9]              // 000000004170: D3B04006 1C209D06
	v_pk_mul_f32 v[4:5], v[4:5], v[76:77]                      // 000000004178: D3B14004 18029904
	v_pk_mul_f32 v[6:7], v[6:7], v[78:79]                      // 000000004180: D3B14006 18029D06
	v_pk_mul_f32 v[4:5], v[4:5], s[60:61]                      // 000000004188: D3B14004 18007904
	v_pk_mul_f32 v[6:7], v[6:7], s[60:61]                      // 000000004190: D3B14006 18007906
	v_exp_f32_e32 v4, v4                                       // 000000004198: 7E084104
	v_exp_f32_e32 v5, v5                                       // 00000000419C: 7E0A4105
	v_exp_f32_e32 v6, v6                                       // 0000000041A0: 7E0C4106
	v_exp_f32_e32 v7, v7                                       // 0000000041A4: 7E0E4107
	v_add_f32_e64 v4, v4, 1.0                                  // 0000000041A8: D1010004 0001E504
	v_add_f32_e64 v5, v5, 1.0                                  // 0000000041B0: D1010005 0001E505
	v_add_f32_e64 v6, v6, 1.0                                  // 0000000041B8: D1010006 0001E506
	v_add_f32_e64 v7, v7, 1.0                                  // 0000000041C0: D1010007 0001E507
	v_rcp_f32_e32 v4, v4                                       // 0000000041C8: 7E084504
	v_rcp_f32_e32 v5, v5                                       // 0000000041CC: 7E0A4505
	v_rcp_f32_e32 v6, v6                                       // 0000000041D0: 7E0C4506
	v_rcp_f32_e32 v7, v7                                       // 0000000041D4: 7E0E4507
	v_mul_f32_e32 v76, v76, v4                                 // 0000000041D8: 0A98094C
	v_mul_f32_e32 v77, v77, v5                                 // 0000000041DC: 0A9A0B4D
	v_mul_f32_e32 v78, v78, v6                                 // 0000000041E0: 0A9C0D4E
	v_mul_f32_e32 v79, v79, v7                                 // 0000000041E4: 0A9E0F4F
	v_mul_f32_e32 v76, v76, v104                               // 0000000041E8: 0A98D14C
	v_mul_f32_e32 v77, v77, v105                               // 0000000041EC: 0A9AD34D
	v_mul_f32_e32 v78, v78, v106                               // 0000000041F0: 0A9CD54E
	v_mul_f32_e32 v79, v79, v107                               // 0000000041F4: 0A9ED74F
	v_pk_mul_f32 v[4:5], v[80:81], v[80:81]                    // 0000000041F8: D3B14004 1802A150
	v_pk_mul_f32 v[6:7], v[82:83], v[82:83]                    // 000000004200: D3B14006 1802A552
	v_pk_fma_f32 v[4:5], v[4:5], s[78:79], v[8:9]              // 000000004208: D3B04004 1C209D04
	v_pk_fma_f32 v[6:7], v[6:7], s[78:79], v[8:9]              // 000000004210: D3B04006 1C209D06
	v_pk_mul_f32 v[4:5], v[4:5], v[80:81]                      // 000000004218: D3B14004 1802A104
	v_pk_mul_f32 v[6:7], v[6:7], v[82:83]                      // 000000004220: D3B14006 1802A506
	v_pk_mul_f32 v[4:5], v[4:5], s[60:61]                      // 000000004228: D3B14004 18007904
	v_pk_mul_f32 v[6:7], v[6:7], s[60:61]                      // 000000004230: D3B14006 18007906
	v_exp_f32_e32 v4, v4                                       // 000000004238: 7E084104
	v_exp_f32_e32 v5, v5                                       // 00000000423C: 7E0A4105
	v_exp_f32_e32 v6, v6                                       // 000000004240: 7E0C4106
	v_exp_f32_e32 v7, v7                                       // 000000004244: 7E0E4107
	v_add_f32_e64 v4, v4, 1.0                                  // 000000004248: D1010004 0001E504
	v_add_f32_e64 v5, v5, 1.0                                  // 000000004250: D1010005 0001E505
	v_add_f32_e64 v6, v6, 1.0                                  // 000000004258: D1010006 0001E506
	v_add_f32_e64 v7, v7, 1.0                                  // 000000004260: D1010007 0001E507
	v_rcp_f32_e32 v4, v4                                       // 000000004268: 7E084504
	v_rcp_f32_e32 v5, v5                                       // 00000000426C: 7E0A4505
	v_rcp_f32_e32 v6, v6                                       // 000000004270: 7E0C4506
	v_rcp_f32_e32 v7, v7                                       // 000000004274: 7E0E4507
	v_mul_f32_e32 v80, v80, v4                                 // 000000004278: 0AA00950
	v_mul_f32_e32 v81, v81, v5                                 // 00000000427C: 0AA20B51
	v_mul_f32_e32 v82, v82, v6                                 // 000000004280: 0AA40D52
	v_mul_f32_e32 v83, v83, v7                                 // 000000004284: 0AA60F53
	v_mul_f32_e32 v80, v80, v108                               // 000000004288: 0AA0D950
	v_mul_f32_e32 v81, v81, v109                               // 00000000428C: 0AA2DB51
	v_mul_f32_e32 v82, v82, v110                               // 000000004290: 0AA4DD52
	v_mul_f32_e32 v83, v83, v111                               // 000000004294: 0AA6DF53
	v_pk_mul_f32 v[4:5], v[84:85], v[84:85]                    // 000000004298: D3B14004 1802A954
	v_pk_mul_f32 v[6:7], v[86:87], v[86:87]                    // 0000000042A0: D3B14006 1802AD56
	v_pk_fma_f32 v[4:5], v[4:5], s[78:79], v[8:9]              // 0000000042A8: D3B04004 1C209D04
	v_pk_fma_f32 v[6:7], v[6:7], s[78:79], v[8:9]              // 0000000042B0: D3B04006 1C209D06
	v_pk_mul_f32 v[4:5], v[4:5], v[84:85]                      // 0000000042B8: D3B14004 1802A904
	v_pk_mul_f32 v[6:7], v[6:7], v[86:87]                      // 0000000042C0: D3B14006 1802AD06
	v_pk_mul_f32 v[4:5], v[4:5], s[60:61]                      // 0000000042C8: D3B14004 18007904
	v_pk_mul_f32 v[6:7], v[6:7], s[60:61]                      // 0000000042D0: D3B14006 18007906
	v_exp_f32_e32 v4, v4                                       // 0000000042D8: 7E084104
	v_exp_f32_e32 v5, v5                                       // 0000000042DC: 7E0A4105
	v_exp_f32_e32 v6, v6                                       // 0000000042E0: 7E0C4106
	v_exp_f32_e32 v7, v7                                       // 0000000042E4: 7E0E4107
	v_add_f32_e64 v4, v4, 1.0                                  // 0000000042E8: D1010004 0001E504
	v_add_f32_e64 v5, v5, 1.0                                  // 0000000042F0: D1010005 0001E505
	v_add_f32_e64 v6, v6, 1.0                                  // 0000000042F8: D1010006 0001E506
	v_add_f32_e64 v7, v7, 1.0                                  // 000000004300: D1010007 0001E507
	v_rcp_f32_e32 v4, v4                                       // 000000004308: 7E084504
	v_rcp_f32_e32 v5, v5                                       // 00000000430C: 7E0A4505
	v_rcp_f32_e32 v6, v6                                       // 000000004310: 7E0C4506
	v_rcp_f32_e32 v7, v7                                       // 000000004314: 7E0E4507
	v_mul_f32_e32 v84, v84, v4                                 // 000000004318: 0AA80954
	v_mul_f32_e32 v85, v85, v5                                 // 00000000431C: 0AAA0B55
	v_mul_f32_e32 v86, v86, v6                                 // 000000004320: 0AAC0D56
	v_mul_f32_e32 v87, v87, v7                                 // 000000004324: 0AAE0F57
	v_mul_f32_e32 v84, v84, v112                               // 000000004328: 0AA8E154
	v_mul_f32_e32 v85, v85, v113                               // 00000000432C: 0AAAE355
	v_mul_f32_e32 v86, v86, v114                               // 000000004330: 0AACE556
	v_mul_f32_e32 v87, v87, v115                               // 000000004334: 0AAEE757
	v_pk_mul_f32 v[4:5], v[88:89], v[88:89]                    // 000000004338: D3B14004 1802B158
	v_pk_mul_f32 v[6:7], v[90:91], v[90:91]                    // 000000004340: D3B14006 1802B55A
	v_pk_fma_f32 v[4:5], v[4:5], s[78:79], v[8:9]              // 000000004348: D3B04004 1C209D04
	v_pk_fma_f32 v[6:7], v[6:7], s[78:79], v[8:9]              // 000000004350: D3B04006 1C209D06
	v_pk_mul_f32 v[4:5], v[4:5], v[88:89]                      // 000000004358: D3B14004 1802B104
	v_pk_mul_f32 v[6:7], v[6:7], v[90:91]                      // 000000004360: D3B14006 1802B506
	v_pk_mul_f32 v[4:5], v[4:5], s[60:61]                      // 000000004368: D3B14004 18007904
	v_pk_mul_f32 v[6:7], v[6:7], s[60:61]                      // 000000004370: D3B14006 18007906
	v_exp_f32_e32 v4, v4                                       // 000000004378: 7E084104
	v_exp_f32_e32 v5, v5                                       // 00000000437C: 7E0A4105
	v_exp_f32_e32 v6, v6                                       // 000000004380: 7E0C4106
	v_exp_f32_e32 v7, v7                                       // 000000004384: 7E0E4107
	v_add_f32_e64 v4, v4, 1.0                                  // 000000004388: D1010004 0001E504
	v_add_f32_e64 v5, v5, 1.0                                  // 000000004390: D1010005 0001E505
	v_add_f32_e64 v6, v6, 1.0                                  // 000000004398: D1010006 0001E506
	v_add_f32_e64 v7, v7, 1.0                                  // 0000000043A0: D1010007 0001E507
	v_rcp_f32_e32 v4, v4                                       // 0000000043A8: 7E084504
	v_rcp_f32_e32 v5, v5                                       // 0000000043AC: 7E0A4505
	v_rcp_f32_e32 v6, v6                                       // 0000000043B0: 7E0C4506
	v_rcp_f32_e32 v7, v7                                       // 0000000043B4: 7E0E4507
	v_mul_f32_e32 v88, v88, v4                                 // 0000000043B8: 0AB00958
	v_mul_f32_e32 v89, v89, v5                                 // 0000000043BC: 0AB20B59
	v_mul_f32_e32 v90, v90, v6                                 // 0000000043C0: 0AB40D5A
	v_mul_f32_e32 v91, v91, v7                                 // 0000000043C4: 0AB60F5B
	v_mul_f32_e32 v88, v88, v116                               // 0000000043C8: 0AB0E958
	v_mul_f32_e32 v89, v89, v117                               // 0000000043CC: 0AB2EB59
	v_mul_f32_e32 v90, v90, v118                               // 0000000043D0: 0AB4ED5A
	v_mul_f32_e32 v91, v91, v119                               // 0000000043D4: 0AB6EF5B
	v_pk_mul_f32 v[4:5], v[92:93], v[92:93]                    // 0000000043D8: D3B14004 1802B95C
	v_pk_mul_f32 v[6:7], v[94:95], v[94:95]                    // 0000000043E0: D3B14006 1802BD5E
	v_pk_fma_f32 v[4:5], v[4:5], s[78:79], v[8:9]              // 0000000043E8: D3B04004 1C209D04
	v_pk_fma_f32 v[6:7], v[6:7], s[78:79], v[8:9]              // 0000000043F0: D3B04006 1C209D06
	v_pk_mul_f32 v[4:5], v[4:5], v[92:93]                      // 0000000043F8: D3B14004 1802B904
	v_pk_mul_f32 v[6:7], v[6:7], v[94:95]                      // 000000004400: D3B14006 1802BD06
	v_pk_mul_f32 v[4:5], v[4:5], s[60:61]                      // 000000004408: D3B14004 18007904
	v_pk_mul_f32 v[6:7], v[6:7], s[60:61]                      // 000000004410: D3B14006 18007906
	v_exp_f32_e32 v4, v4                                       // 000000004418: 7E084104
	v_exp_f32_e32 v5, v5                                       // 00000000441C: 7E0A4105
	v_exp_f32_e32 v6, v6                                       // 000000004420: 7E0C4106
	v_exp_f32_e32 v7, v7                                       // 000000004424: 7E0E4107
	v_add_f32_e64 v4, v4, 1.0                                  // 000000004428: D1010004 0001E504
	v_add_f32_e64 v5, v5, 1.0                                  // 000000004430: D1010005 0001E505
	v_add_f32_e64 v6, v6, 1.0                                  // 000000004438: D1010006 0001E506
	v_add_f32_e64 v7, v7, 1.0                                  // 000000004440: D1010007 0001E507
	v_rcp_f32_e32 v4, v4                                       // 000000004448: 7E084504
	v_rcp_f32_e32 v5, v5                                       // 00000000444C: 7E0A4505
	v_rcp_f32_e32 v6, v6                                       // 000000004450: 7E0C4506
	v_rcp_f32_e32 v7, v7                                       // 000000004454: 7E0E4507
	v_mul_f32_e32 v92, v92, v4                                 // 000000004458: 0AB8095C
	v_mul_f32_e32 v93, v93, v5                                 // 00000000445C: 0ABA0B5D
	v_mul_f32_e32 v94, v94, v6                                 // 000000004460: 0ABC0D5E
	v_mul_f32_e32 v95, v95, v7                                 // 000000004464: 0ABE0F5F
	v_mul_f32_e32 v92, v92, v120                               // 000000004468: 0AB8F15C
	v_mul_f32_e32 v93, v93, v121                               // 00000000446C: 0ABAF35D
	v_mul_f32_e32 v94, v94, v122                               // 000000004470: 0ABCF55E
	v_mul_f32_e32 v95, v95, v123                               // 000000004474: 0ABEF75F
	v_pk_mul_f32 v[4:5], v[96:97], v[96:97]                    // 000000004478: D3B14004 1802C160
	v_pk_mul_f32 v[6:7], v[98:99], v[98:99]                    // 000000004480: D3B14006 1802C562
	v_pk_fma_f32 v[4:5], v[4:5], s[78:79], v[8:9]              // 000000004488: D3B04004 1C209D04
	v_pk_fma_f32 v[6:7], v[6:7], s[78:79], v[8:9]              // 000000004490: D3B04006 1C209D06
	v_pk_mul_f32 v[4:5], v[4:5], v[96:97]                      // 000000004498: D3B14004 1802C104
	v_pk_mul_f32 v[6:7], v[6:7], v[98:99]                      // 0000000044A0: D3B14006 1802C506
	v_pk_mul_f32 v[4:5], v[4:5], s[60:61]                      // 0000000044A8: D3B14004 18007904
	v_pk_mul_f32 v[6:7], v[6:7], s[60:61]                      // 0000000044B0: D3B14006 18007906
	v_exp_f32_e32 v4, v4                                       // 0000000044B8: 7E084104
	v_exp_f32_e32 v5, v5                                       // 0000000044BC: 7E0A4105
	v_exp_f32_e32 v6, v6                                       // 0000000044C0: 7E0C4106
	v_exp_f32_e32 v7, v7                                       // 0000000044C4: 7E0E4107
	v_add_f32_e64 v4, v4, 1.0                                  // 0000000044C8: D1010004 0001E504
	v_add_f32_e64 v5, v5, 1.0                                  // 0000000044D0: D1010005 0001E505
	v_add_f32_e64 v6, v6, 1.0                                  // 0000000044D8: D1010006 0001E506
	v_add_f32_e64 v7, v7, 1.0                                  // 0000000044E0: D1010007 0001E507
	v_rcp_f32_e32 v4, v4                                       // 0000000044E8: 7E084504
	v_rcp_f32_e32 v5, v5                                       // 0000000044EC: 7E0A4505
	v_rcp_f32_e32 v6, v6                                       // 0000000044F0: 7E0C4506
	v_rcp_f32_e32 v7, v7                                       // 0000000044F4: 7E0E4507
	v_mul_f32_e32 v96, v96, v4                                 // 0000000044F8: 0AC00960
	v_mul_f32_e32 v97, v97, v5                                 // 0000000044FC: 0AC20B61
	v_mul_f32_e32 v98, v98, v6                                 // 000000004500: 0AC40D62
	v_mul_f32_e32 v99, v99, v7                                 // 000000004504: 0AC60F63
	v_mul_f32_e32 v96, v96, v124                               // 000000004508: 0AC0F960
	v_mul_f32_e32 v97, v97, v125                               // 00000000450C: 0AC2FB61
	v_mul_f32_e32 v98, v98, v126                               // 000000004510: 0AC4FD62
	v_mul_f32_e32 v99, v99, v127                               // 000000004514: 0AC6FF63
	s_branch label_07A7                                        // 000000004518: BF8200E0

000000000000451c <label_06C7>:
	v_mul_f32_e64 v4, -v72, s6                                 // 00000000451C: D1050004 20000D48
	v_mul_f32_e64 v5, -v73, s6                                 // 000000004524: D1050005 20000D49
	v_mul_f32_e64 v6, -v74, s6                                 // 00000000452C: D1050006 20000D4A
	v_mul_f32_e64 v7, -v75, s6                                 // 000000004534: D1050007 20000D4B
	v_exp_f32_e32 v4, v4                                       // 00000000453C: 7E084104
	v_exp_f32_e32 v5, v5                                       // 000000004540: 7E0A4105
	v_exp_f32_e32 v6, v6                                       // 000000004544: 7E0C4106
	v_exp_f32_e32 v7, v7                                       // 000000004548: 7E0E4107
	v_add_f32_e64 v4, v4, 1.0                                  // 00000000454C: D1010004 0001E504
	v_add_f32_e64 v5, v5, 1.0                                  // 000000004554: D1010005 0001E505
	v_add_f32_e64 v6, v6, 1.0                                  // 00000000455C: D1010006 0001E506
	v_add_f32_e64 v7, v7, 1.0                                  // 000000004564: D1010007 0001E507
	v_rcp_f32_e32 v4, v4                                       // 00000000456C: 7E084504
	v_rcp_f32_e32 v5, v5                                       // 000000004570: 7E0A4505
	v_rcp_f32_e32 v6, v6                                       // 000000004574: 7E0C4506
	v_rcp_f32_e32 v7, v7                                       // 000000004578: 7E0E4507
	v_mul_f32_e32 v72, v72, v4                                 // 00000000457C: 0A900948
	v_mul_f32_e32 v73, v73, v5                                 // 000000004580: 0A920B49
	v_mul_f32_e32 v74, v74, v6                                 // 000000004584: 0A940D4A
	v_mul_f32_e32 v75, v75, v7                                 // 000000004588: 0A960F4B
	v_mul_f32_e32 v72, v72, v100                               // 00000000458C: 0A90C948
	v_mul_f32_e32 v73, v73, v101                               // 000000004590: 0A92CB49
	v_mul_f32_e32 v74, v74, v102                               // 000000004594: 0A94CD4A
	v_mul_f32_e32 v75, v75, v103                               // 000000004598: 0A96CF4B
	v_mul_f32_e64 v4, -v76, s6                                 // 00000000459C: D1050004 20000D4C
	v_mul_f32_e64 v5, -v77, s6                                 // 0000000045A4: D1050005 20000D4D
	v_mul_f32_e64 v6, -v78, s6                                 // 0000000045AC: D1050006 20000D4E
	v_mul_f32_e64 v7, -v79, s6                                 // 0000000045B4: D1050007 20000D4F
	v_exp_f32_e32 v4, v4                                       // 0000000045BC: 7E084104
	v_exp_f32_e32 v5, v5                                       // 0000000045C0: 7E0A4105
	v_exp_f32_e32 v6, v6                                       // 0000000045C4: 7E0C4106
	v_exp_f32_e32 v7, v7                                       // 0000000045C8: 7E0E4107
	v_add_f32_e64 v4, v4, 1.0                                  // 0000000045CC: D1010004 0001E504
	v_add_f32_e64 v5, v5, 1.0                                  // 0000000045D4: D1010005 0001E505
	v_add_f32_e64 v6, v6, 1.0                                  // 0000000045DC: D1010006 0001E506
	v_add_f32_e64 v7, v7, 1.0                                  // 0000000045E4: D1010007 0001E507
	v_rcp_f32_e32 v4, v4                                       // 0000000045EC: 7E084504
	v_rcp_f32_e32 v5, v5                                       // 0000000045F0: 7E0A4505
	v_rcp_f32_e32 v6, v6                                       // 0000000045F4: 7E0C4506
	v_rcp_f32_e32 v7, v7                                       // 0000000045F8: 7E0E4507
	v_mul_f32_e32 v76, v76, v4                                 // 0000000045FC: 0A98094C
	v_mul_f32_e32 v77, v77, v5                                 // 000000004600: 0A9A0B4D
	v_mul_f32_e32 v78, v78, v6                                 // 000000004604: 0A9C0D4E
	v_mul_f32_e32 v79, v79, v7                                 // 000000004608: 0A9E0F4F
	v_mul_f32_e32 v76, v76, v104                               // 00000000460C: 0A98D14C
	v_mul_f32_e32 v77, v77, v105                               // 000000004610: 0A9AD34D
	v_mul_f32_e32 v78, v78, v106                               // 000000004614: 0A9CD54E
	v_mul_f32_e32 v79, v79, v107                               // 000000004618: 0A9ED74F
	v_mul_f32_e64 v4, -v80, s6                                 // 00000000461C: D1050004 20000D50
	v_mul_f32_e64 v5, -v81, s6                                 // 000000004624: D1050005 20000D51
	v_mul_f32_e64 v6, -v82, s6                                 // 00000000462C: D1050006 20000D52
	v_mul_f32_e64 v7, -v83, s6                                 // 000000004634: D1050007 20000D53
	v_exp_f32_e32 v4, v4                                       // 00000000463C: 7E084104
	v_exp_f32_e32 v5, v5                                       // 000000004640: 7E0A4105
	v_exp_f32_e32 v6, v6                                       // 000000004644: 7E0C4106
	v_exp_f32_e32 v7, v7                                       // 000000004648: 7E0E4107
	v_add_f32_e64 v4, v4, 1.0                                  // 00000000464C: D1010004 0001E504
	v_add_f32_e64 v5, v5, 1.0                                  // 000000004654: D1010005 0001E505
	v_add_f32_e64 v6, v6, 1.0                                  // 00000000465C: D1010006 0001E506
	v_add_f32_e64 v7, v7, 1.0                                  // 000000004664: D1010007 0001E507
	v_rcp_f32_e32 v4, v4                                       // 00000000466C: 7E084504
	v_rcp_f32_e32 v5, v5                                       // 000000004670: 7E0A4505
	v_rcp_f32_e32 v6, v6                                       // 000000004674: 7E0C4506
	v_rcp_f32_e32 v7, v7                                       // 000000004678: 7E0E4507
	v_mul_f32_e32 v80, v80, v4                                 // 00000000467C: 0AA00950
	v_mul_f32_e32 v81, v81, v5                                 // 000000004680: 0AA20B51
	v_mul_f32_e32 v82, v82, v6                                 // 000000004684: 0AA40D52
	v_mul_f32_e32 v83, v83, v7                                 // 000000004688: 0AA60F53
	v_mul_f32_e32 v80, v80, v108                               // 00000000468C: 0AA0D950
	v_mul_f32_e32 v81, v81, v109                               // 000000004690: 0AA2DB51
	v_mul_f32_e32 v82, v82, v110                               // 000000004694: 0AA4DD52
	v_mul_f32_e32 v83, v83, v111                               // 000000004698: 0AA6DF53
	v_mul_f32_e64 v4, -v84, s6                                 // 00000000469C: D1050004 20000D54
	v_mul_f32_e64 v5, -v85, s6                                 // 0000000046A4: D1050005 20000D55
	v_mul_f32_e64 v6, -v86, s6                                 // 0000000046AC: D1050006 20000D56
	v_mul_f32_e64 v7, -v87, s6                                 // 0000000046B4: D1050007 20000D57
	v_exp_f32_e32 v4, v4                                       // 0000000046BC: 7E084104
	v_exp_f32_e32 v5, v5                                       // 0000000046C0: 7E0A4105
	v_exp_f32_e32 v6, v6                                       // 0000000046C4: 7E0C4106
	v_exp_f32_e32 v7, v7                                       // 0000000046C8: 7E0E4107
	v_add_f32_e64 v4, v4, 1.0                                  // 0000000046CC: D1010004 0001E504
	v_add_f32_e64 v5, v5, 1.0                                  // 0000000046D4: D1010005 0001E505
	v_add_f32_e64 v6, v6, 1.0                                  // 0000000046DC: D1010006 0001E506
	v_add_f32_e64 v7, v7, 1.0                                  // 0000000046E4: D1010007 0001E507
	v_rcp_f32_e32 v4, v4                                       // 0000000046EC: 7E084504
	v_rcp_f32_e32 v5, v5                                       // 0000000046F0: 7E0A4505
	v_rcp_f32_e32 v6, v6                                       // 0000000046F4: 7E0C4506
	v_rcp_f32_e32 v7, v7                                       // 0000000046F8: 7E0E4507
	v_mul_f32_e32 v84, v84, v4                                 // 0000000046FC: 0AA80954
	v_mul_f32_e32 v85, v85, v5                                 // 000000004700: 0AAA0B55
	v_mul_f32_e32 v86, v86, v6                                 // 000000004704: 0AAC0D56
	v_mul_f32_e32 v87, v87, v7                                 // 000000004708: 0AAE0F57
	v_mul_f32_e32 v84, v84, v112                               // 00000000470C: 0AA8E154
	v_mul_f32_e32 v85, v85, v113                               // 000000004710: 0AAAE355
	v_mul_f32_e32 v86, v86, v114                               // 000000004714: 0AACE556
	v_mul_f32_e32 v87, v87, v115                               // 000000004718: 0AAEE757
	v_mul_f32_e64 v4, -v88, s6                                 // 00000000471C: D1050004 20000D58
	v_mul_f32_e64 v5, -v89, s6                                 // 000000004724: D1050005 20000D59
	v_mul_f32_e64 v6, -v90, s6                                 // 00000000472C: D1050006 20000D5A
	v_mul_f32_e64 v7, -v91, s6                                 // 000000004734: D1050007 20000D5B
	v_exp_f32_e32 v4, v4                                       // 00000000473C: 7E084104
	v_exp_f32_e32 v5, v5                                       // 000000004740: 7E0A4105
	v_exp_f32_e32 v6, v6                                       // 000000004744: 7E0C4106
	v_exp_f32_e32 v7, v7                                       // 000000004748: 7E0E4107
	v_add_f32_e64 v4, v4, 1.0                                  // 00000000474C: D1010004 0001E504
	v_add_f32_e64 v5, v5, 1.0                                  // 000000004754: D1010005 0001E505
	v_add_f32_e64 v6, v6, 1.0                                  // 00000000475C: D1010006 0001E506
	v_add_f32_e64 v7, v7, 1.0                                  // 000000004764: D1010007 0001E507
	v_rcp_f32_e32 v4, v4                                       // 00000000476C: 7E084504
	v_rcp_f32_e32 v5, v5                                       // 000000004770: 7E0A4505
	v_rcp_f32_e32 v6, v6                                       // 000000004774: 7E0C4506
	v_rcp_f32_e32 v7, v7                                       // 000000004778: 7E0E4507
	v_mul_f32_e32 v88, v88, v4                                 // 00000000477C: 0AB00958
	v_mul_f32_e32 v89, v89, v5                                 // 000000004780: 0AB20B59
	v_mul_f32_e32 v90, v90, v6                                 // 000000004784: 0AB40D5A
	v_mul_f32_e32 v91, v91, v7                                 // 000000004788: 0AB60F5B
	v_mul_f32_e32 v88, v88, v116                               // 00000000478C: 0AB0E958
	v_mul_f32_e32 v89, v89, v117                               // 000000004790: 0AB2EB59
	v_mul_f32_e32 v90, v90, v118                               // 000000004794: 0AB4ED5A
	v_mul_f32_e32 v91, v91, v119                               // 000000004798: 0AB6EF5B
	v_mul_f32_e64 v4, -v92, s6                                 // 00000000479C: D1050004 20000D5C
	v_mul_f32_e64 v5, -v93, s6                                 // 0000000047A4: D1050005 20000D5D
	v_mul_f32_e64 v6, -v94, s6                                 // 0000000047AC: D1050006 20000D5E
	v_mul_f32_e64 v7, -v95, s6                                 // 0000000047B4: D1050007 20000D5F
	v_exp_f32_e32 v4, v4                                       // 0000000047BC: 7E084104
	v_exp_f32_e32 v5, v5                                       // 0000000047C0: 7E0A4105
	v_exp_f32_e32 v6, v6                                       // 0000000047C4: 7E0C4106
	v_exp_f32_e32 v7, v7                                       // 0000000047C8: 7E0E4107
	v_add_f32_e64 v4, v4, 1.0                                  // 0000000047CC: D1010004 0001E504
	v_add_f32_e64 v5, v5, 1.0                                  // 0000000047D4: D1010005 0001E505
	v_add_f32_e64 v6, v6, 1.0                                  // 0000000047DC: D1010006 0001E506
	v_add_f32_e64 v7, v7, 1.0                                  // 0000000047E4: D1010007 0001E507
	v_rcp_f32_e32 v4, v4                                       // 0000000047EC: 7E084504
	v_rcp_f32_e32 v5, v5                                       // 0000000047F0: 7E0A4505
	v_rcp_f32_e32 v6, v6                                       // 0000000047F4: 7E0C4506
	v_rcp_f32_e32 v7, v7                                       // 0000000047F8: 7E0E4507
	v_mul_f32_e32 v92, v92, v4                                 // 0000000047FC: 0AB8095C
	v_mul_f32_e32 v93, v93, v5                                 // 000000004800: 0ABA0B5D
	v_mul_f32_e32 v94, v94, v6                                 // 000000004804: 0ABC0D5E
	v_mul_f32_e32 v95, v95, v7                                 // 000000004808: 0ABE0F5F
	v_mul_f32_e32 v92, v92, v120                               // 00000000480C: 0AB8F15C
	v_mul_f32_e32 v93, v93, v121                               // 000000004810: 0ABAF35D
	v_mul_f32_e32 v94, v94, v122                               // 000000004814: 0ABCF55E
	v_mul_f32_e32 v95, v95, v123                               // 000000004818: 0ABEF75F
	v_mul_f32_e64 v4, -v96, s6                                 // 00000000481C: D1050004 20000D60
	v_mul_f32_e64 v5, -v97, s6                                 // 000000004824: D1050005 20000D61
	v_mul_f32_e64 v6, -v98, s6                                 // 00000000482C: D1050006 20000D62
	v_mul_f32_e64 v7, -v99, s6                                 // 000000004834: D1050007 20000D63
	v_exp_f32_e32 v4, v4                                       // 00000000483C: 7E084104
	v_exp_f32_e32 v5, v5                                       // 000000004840: 7E0A4105
	v_exp_f32_e32 v6, v6                                       // 000000004844: 7E0C4106
	v_exp_f32_e32 v7, v7                                       // 000000004848: 7E0E4107
	v_add_f32_e64 v4, v4, 1.0                                  // 00000000484C: D1010004 0001E504
	v_add_f32_e64 v5, v5, 1.0                                  // 000000004854: D1010005 0001E505
	v_add_f32_e64 v6, v6, 1.0                                  // 00000000485C: D1010006 0001E506
	v_add_f32_e64 v7, v7, 1.0                                  // 000000004864: D1010007 0001E507
	v_rcp_f32_e32 v4, v4                                       // 00000000486C: 7E084504
	v_rcp_f32_e32 v5, v5                                       // 000000004870: 7E0A4505
	v_rcp_f32_e32 v6, v6                                       // 000000004874: 7E0C4506
	v_rcp_f32_e32 v7, v7                                       // 000000004878: 7E0E4507
	v_mul_f32_e32 v96, v96, v4                                 // 00000000487C: 0AC00960
	v_mul_f32_e32 v97, v97, v5                                 // 000000004880: 0AC20B61
	v_mul_f32_e32 v98, v98, v6                                 // 000000004884: 0AC40D62
	v_mul_f32_e32 v99, v99, v7                                 // 000000004888: 0AC60F63
	v_mul_f32_e32 v96, v96, v124                               // 00000000488C: 0AC0F960
	v_mul_f32_e32 v97, v97, v125                               // 000000004890: 0AC2FB61
	v_mul_f32_e32 v98, v98, v126                               // 000000004894: 0AC4FD62
	v_mul_f32_e32 v99, v99, v127                               // 000000004898: 0AC6FF63

000000000000489c <label_07A7>:
	v_cmp_u_f32_e64 s[46:47], v72, v72                         // 00000000489C: D048002E 00029148
	v_add3_u32 v16, v72, v19, 1                                // 0000000048A4: D1FF0010 02062748
	v_cndmask_b32_e64 v4, v16, v18, s[46:47]                   // 0000000048AC: D1000004 00BA2510
	v_cmp_u_f32_e64 s[46:47], v73, v73                         // 0000000048B4: D048002E 00029349
	v_add3_u32 v16, v73, v19, 1                                // 0000000048BC: D1FF0010 02062749
	v_cndmask_b32_e64 v5, v16, v18, s[46:47]                   // 0000000048C4: D1000005 00BA2510
	v_perm_b32 v72, v5, v4, s52                                // 0000000048CC: D1ED0048 00D20905
	v_cmp_u_f32_e64 s[46:47], v74, v74                         // 0000000048D4: D048002E 0002954A
	v_add3_u32 v16, v74, v19, 1                                // 0000000048DC: D1FF0010 0206274A
	v_cndmask_b32_e64 v4, v16, v18, s[46:47]                   // 0000000048E4: D1000004 00BA2510
	v_cmp_u_f32_e64 s[46:47], v75, v75                         // 0000000048EC: D048002E 0002974B
	v_add3_u32 v16, v75, v19, 1                                // 0000000048F4: D1FF0010 0206274B
	v_cndmask_b32_e64 v5, v16, v18, s[46:47]                   // 0000000048FC: D1000005 00BA2510
	v_perm_b32 v73, v5, v4, s52                                // 000000004904: D1ED0049 00D20905
	v_cmp_u_f32_e64 s[46:47], v76, v76                         // 00000000490C: D048002E 0002994C
	v_add3_u32 v16, v76, v19, 1                                // 000000004914: D1FF0010 0206274C
	v_cndmask_b32_e64 v4, v16, v18, s[46:47]                   // 00000000491C: D1000004 00BA2510
	v_cmp_u_f32_e64 s[46:47], v77, v77                         // 000000004924: D048002E 00029B4D
	v_add3_u32 v16, v77, v19, 1                                // 00000000492C: D1FF0010 0206274D
	v_cndmask_b32_e64 v5, v16, v18, s[46:47]                   // 000000004934: D1000005 00BA2510
	v_perm_b32 v74, v5, v4, s52                                // 00000000493C: D1ED004A 00D20905
	v_cmp_u_f32_e64 s[46:47], v78, v78                         // 000000004944: D048002E 00029D4E
	v_add3_u32 v16, v78, v19, 1                                // 00000000494C: D1FF0010 0206274E
	v_cndmask_b32_e64 v4, v16, v18, s[46:47]                   // 000000004954: D1000004 00BA2510
	v_cmp_u_f32_e64 s[46:47], v79, v79                         // 00000000495C: D048002E 00029F4F
	v_add3_u32 v16, v79, v19, 1                                // 000000004964: D1FF0010 0206274F
	v_cndmask_b32_e64 v5, v16, v18, s[46:47]                   // 00000000496C: D1000005 00BA2510
	v_perm_b32 v75, v5, v4, s52                                // 000000004974: D1ED004B 00D20905
	v_cmp_u_f32_e64 s[46:47], v80, v80                         // 00000000497C: D048002E 0002A150
	v_add3_u32 v16, v80, v19, 1                                // 000000004984: D1FF0010 02062750
	v_cndmask_b32_e64 v4, v16, v18, s[46:47]                   // 00000000498C: D1000004 00BA2510
	v_cmp_u_f32_e64 s[46:47], v81, v81                         // 000000004994: D048002E 0002A351
	v_add3_u32 v16, v81, v19, 1                                // 00000000499C: D1FF0010 02062751
	v_cndmask_b32_e64 v5, v16, v18, s[46:47]                   // 0000000049A4: D1000005 00BA2510
	v_perm_b32 v76, v5, v4, s52                                // 0000000049AC: D1ED004C 00D20905
	v_cmp_u_f32_e64 s[46:47], v82, v82                         // 0000000049B4: D048002E 0002A552
	v_add3_u32 v16, v82, v19, 1                                // 0000000049BC: D1FF0010 02062752
	v_cndmask_b32_e64 v4, v16, v18, s[46:47]                   // 0000000049C4: D1000004 00BA2510
	v_cmp_u_f32_e64 s[46:47], v83, v83                         // 0000000049CC: D048002E 0002A753
	v_add3_u32 v16, v83, v19, 1                                // 0000000049D4: D1FF0010 02062753
	v_cndmask_b32_e64 v5, v16, v18, s[46:47]                   // 0000000049DC: D1000005 00BA2510
	v_perm_b32 v77, v5, v4, s52                                // 0000000049E4: D1ED004D 00D20905
	v_cmp_u_f32_e64 s[46:47], v84, v84                         // 0000000049EC: D048002E 0002A954
	v_add3_u32 v16, v84, v19, 1                                // 0000000049F4: D1FF0010 02062754
	v_cndmask_b32_e64 v4, v16, v18, s[46:47]                   // 0000000049FC: D1000004 00BA2510
	v_cmp_u_f32_e64 s[46:47], v85, v85                         // 000000004A04: D048002E 0002AB55
	v_add3_u32 v16, v85, v19, 1                                // 000000004A0C: D1FF0010 02062755
	v_cndmask_b32_e64 v5, v16, v18, s[46:47]                   // 000000004A14: D1000005 00BA2510
	v_perm_b32 v78, v5, v4, s52                                // 000000004A1C: D1ED004E 00D20905
	v_cmp_u_f32_e64 s[46:47], v86, v86                         // 000000004A24: D048002E 0002AD56
	v_add3_u32 v16, v86, v19, 1                                // 000000004A2C: D1FF0010 02062756
	v_cndmask_b32_e64 v4, v16, v18, s[46:47]                   // 000000004A34: D1000004 00BA2510
	v_cmp_u_f32_e64 s[46:47], v87, v87                         // 000000004A3C: D048002E 0002AF57
	v_add3_u32 v16, v87, v19, 1                                // 000000004A44: D1FF0010 02062757
	v_cndmask_b32_e64 v5, v16, v18, s[46:47]                   // 000000004A4C: D1000005 00BA2510
	v_perm_b32 v79, v5, v4, s52                                // 000000004A54: D1ED004F 00D20905
	v_cmp_u_f32_e64 s[46:47], v88, v88                         // 000000004A5C: D048002E 0002B158
	v_add3_u32 v16, v88, v19, 1                                // 000000004A64: D1FF0010 02062758
	v_cndmask_b32_e64 v4, v16, v18, s[46:47]                   // 000000004A6C: D1000004 00BA2510
	v_cmp_u_f32_e64 s[46:47], v89, v89                         // 000000004A74: D048002E 0002B359
	v_add3_u32 v16, v89, v19, 1                                // 000000004A7C: D1FF0010 02062759
	v_cndmask_b32_e64 v5, v16, v18, s[46:47]                   // 000000004A84: D1000005 00BA2510
	v_perm_b32 v80, v5, v4, s52                                // 000000004A8C: D1ED0050 00D20905
	v_cmp_u_f32_e64 s[46:47], v90, v90                         // 000000004A94: D048002E 0002B55A
	v_add3_u32 v16, v90, v19, 1                                // 000000004A9C: D1FF0010 0206275A
	v_cndmask_b32_e64 v4, v16, v18, s[46:47]                   // 000000004AA4: D1000004 00BA2510
	v_cmp_u_f32_e64 s[46:47], v91, v91                         // 000000004AAC: D048002E 0002B75B
	v_add3_u32 v16, v91, v19, 1                                // 000000004AB4: D1FF0010 0206275B
	v_cndmask_b32_e64 v5, v16, v18, s[46:47]                   // 000000004ABC: D1000005 00BA2510
	v_perm_b32 v81, v5, v4, s52                                // 000000004AC4: D1ED0051 00D20905
	v_cmp_u_f32_e64 s[46:47], v92, v92                         // 000000004ACC: D048002E 0002B95C
	v_add3_u32 v16, v92, v19, 1                                // 000000004AD4: D1FF0010 0206275C
	v_cndmask_b32_e64 v4, v16, v18, s[46:47]                   // 000000004ADC: D1000004 00BA2510
	v_cmp_u_f32_e64 s[46:47], v93, v93                         // 000000004AE4: D048002E 0002BB5D
	v_add3_u32 v16, v93, v19, 1                                // 000000004AEC: D1FF0010 0206275D
	v_cndmask_b32_e64 v5, v16, v18, s[46:47]                   // 000000004AF4: D1000005 00BA2510
	v_perm_b32 v82, v5, v4, s52                                // 000000004AFC: D1ED0052 00D20905
	v_cmp_u_f32_e64 s[46:47], v94, v94                         // 000000004B04: D048002E 0002BD5E
	v_add3_u32 v16, v94, v19, 1                                // 000000004B0C: D1FF0010 0206275E
	v_cndmask_b32_e64 v4, v16, v18, s[46:47]                   // 000000004B14: D1000004 00BA2510
	v_cmp_u_f32_e64 s[46:47], v95, v95                         // 000000004B1C: D048002E 0002BF5F
	v_add3_u32 v16, v95, v19, 1                                // 000000004B24: D1FF0010 0206275F
	v_cndmask_b32_e64 v5, v16, v18, s[46:47]                   // 000000004B2C: D1000005 00BA2510
	v_perm_b32 v83, v5, v4, s52                                // 000000004B34: D1ED0053 00D20905
	v_cmp_u_f32_e64 s[46:47], v96, v96                         // 000000004B3C: D048002E 0002C160
	v_add3_u32 v16, v96, v19, 1                                // 000000004B44: D1FF0010 02062760
	v_cndmask_b32_e64 v4, v16, v18, s[46:47]                   // 000000004B4C: D1000004 00BA2510
	v_cmp_u_f32_e64 s[46:47], v97, v97                         // 000000004B54: D048002E 0002C361
	v_add3_u32 v16, v97, v19, 1                                // 000000004B5C: D1FF0010 02062761
	v_cndmask_b32_e64 v5, v16, v18, s[46:47]                   // 000000004B64: D1000005 00BA2510
	v_perm_b32 v84, v5, v4, s52                                // 000000004B6C: D1ED0054 00D20905
	v_cmp_u_f32_e64 s[46:47], v98, v98                         // 000000004B74: D048002E 0002C562
	v_add3_u32 v16, v98, v19, 1                                // 000000004B7C: D1FF0010 02062762
	v_cndmask_b32_e64 v4, v16, v18, s[46:47]                   // 000000004B84: D1000004 00BA2510
	v_cmp_u_f32_e64 s[46:47], v99, v99                         // 000000004B8C: D048002E 0002C763
	v_add3_u32 v16, v99, v19, 1                                // 000000004B94: D1FF0010 02062763
	v_cndmask_b32_e64 v5, v16, v18, s[46:47]                   // 000000004B9C: D1000005 00BA2510
	v_perm_b32 v85, v5, v4, s52                                // 000000004BA4: D1ED0055 00D20905
	ds_write_b64 v20, v[72:73]                                 // 000000004BAC: D89A0000 00004814
	ds_write_b64 v20, v[74:75] offset:2176                     // 000000004BB4: D89A0880 00004A14
	ds_write_b64 v20, v[76:77] offset:4352                     // 000000004BBC: D89A1100 00004C14
	ds_write_b64 v20, v[78:79] offset:6528                     // 000000004BC4: D89A1980 00004E14
	ds_write_b64 v20, v[80:81] offset:8704                     // 000000004BCC: D89A2200 00005014
	ds_write_b64 v20, v[82:83] offset:10880                    // 000000004BD4: D89A2A80 00005214
	ds_write_b64 v20, v[84:85] offset:13056                    // 000000004BDC: D89A3300 00005414
	v_lshrrev_b32_e32 v4, 5, v0                                // 000000004BE4: 20080085
	v_xor_b32_e32 v5, 1, v4                                    // 000000004BE8: 2A0A0881
	s_mul_i32 s60, s65, 2                                      // 000000004BEC: 923C8241
	s_cmp_eq_u32 s88, 0                                        // 000000004BF0: BF068058
	s_cselect_b32 s61, 1, 4                                    // 000000004BF4: 853D8481
	s_mul_i32 s60, s61, s60                                    // 000000004BF8: 923C3C3D
	v_readlane_b32 s82, v3, 0                                  // 000000004BFC: D2890052 00010103
	s_lshr_b32 s61, s82, 24                                    // 000000004C04: 8F3D9852
	s_and_b32 s82, s82, 0xffffff                               // 000000004C08: 8652FF52 00FFFFFF
	s_mul_i32 s82, s82, s71                                    // 000000004C10: 92524752
	s_mul_i32 s61, s60, s61                                    // 000000004C14: 923D3D3C
	s_add_u32 s82, s82, s61                                    // 000000004C18: 80523D52
	v_mul_lo_u32 v6, v5, s82                                   // 000000004C1C: D2850006 0000A505
	v_readlane_b32 s82, v3, 1                                  // 000000004C24: D2890052 00010303
	s_lshr_b32 s61, s82, 24                                    // 000000004C2C: 8F3D9852
	s_and_b32 s82, s82, 0xffffff                               // 000000004C30: 8652FF52 00FFFFFF
	s_mul_i32 s82, s82, s71                                    // 000000004C38: 92524752
	s_mul_i32 s61, s60, s61                                    // 000000004C3C: 923D3D3C
	s_add_u32 s82, s82, s61                                    // 000000004C40: 80523D52
	v_mul_lo_u32 v7, v4, s82                                   // 000000004C44: D2850007 0000A504
	v_add_u32_e32 v56, v6, v7                                  // 000000004C4C: 68700F06
	v_readlane_b32 s82, v3, 2                                  // 000000004C50: D2890052 00010503
	s_lshr_b32 s61, s82, 24                                    // 000000004C58: 8F3D9852
	s_and_b32 s82, s82, 0xffffff                               // 000000004C5C: 8652FF52 00FFFFFF
	s_mul_i32 s82, s82, s71                                    // 000000004C64: 92524752
	s_mul_i32 s61, s60, s61                                    // 000000004C68: 923D3D3C
	s_add_u32 s82, s82, s61                                    // 000000004C6C: 80523D52
	v_mul_lo_u32 v6, v5, s82                                   // 000000004C70: D2850006 0000A505
	v_readlane_b32 s82, v3, 3                                  // 000000004C78: D2890052 00010703
	s_lshr_b32 s61, s82, 24                                    // 000000004C80: 8F3D9852
	s_and_b32 s82, s82, 0xffffff                               // 000000004C84: 8652FF52 00FFFFFF
	s_mul_i32 s82, s82, s71                                    // 000000004C8C: 92524752
	s_mul_i32 s61, s60, s61                                    // 000000004C90: 923D3D3C
	s_add_u32 s82, s82, s61                                    // 000000004C94: 80523D52
	v_mul_lo_u32 v7, v4, s82                                   // 000000004C98: D2850007 0000A504
	v_add_u32_e32 v57, v6, v7                                  // 000000004CA0: 68720F06
	v_readlane_b32 s82, v3, 4                                  // 000000004CA4: D2890052 00010903
	s_lshr_b32 s61, s82, 24                                    // 000000004CAC: 8F3D9852
	s_and_b32 s82, s82, 0xffffff                               // 000000004CB0: 8652FF52 00FFFFFF
	s_mul_i32 s82, s82, s71                                    // 000000004CB8: 92524752
	s_mul_i32 s61, s60, s61                                    // 000000004CBC: 923D3D3C
	s_add_u32 s82, s82, s61                                    // 000000004CC0: 80523D52
	v_mul_lo_u32 v6, v5, s82                                   // 000000004CC4: D2850006 0000A505
	v_readlane_b32 s82, v3, 5                                  // 000000004CCC: D2890052 00010B03
	s_lshr_b32 s61, s82, 24                                    // 000000004CD4: 8F3D9852
	s_and_b32 s82, s82, 0xffffff                               // 000000004CD8: 8652FF52 00FFFFFF
	s_mul_i32 s82, s82, s71                                    // 000000004CE0: 92524752
	s_mul_i32 s61, s60, s61                                    // 000000004CE4: 923D3D3C
	s_add_u32 s82, s82, s61                                    // 000000004CE8: 80523D52
	v_mul_lo_u32 v7, v4, s82                                   // 000000004CEC: D2850007 0000A504
	v_add_u32_e32 v58, v6, v7                                  // 000000004CF4: 68740F06
	v_readlane_b32 s82, v3, 6                                  // 000000004CF8: D2890052 00010D03
	s_lshr_b32 s61, s82, 24                                    // 000000004D00: 8F3D9852
	s_and_b32 s82, s82, 0xffffff                               // 000000004D04: 8652FF52 00FFFFFF
	s_mul_i32 s82, s82, s71                                    // 000000004D0C: 92524752
	s_mul_i32 s61, s60, s61                                    // 000000004D10: 923D3D3C
	s_add_u32 s82, s82, s61                                    // 000000004D14: 80523D52
	v_mul_lo_u32 v6, v5, s82                                   // 000000004D18: D2850006 0000A505
	v_readlane_b32 s82, v3, 7                                  // 000000004D20: D2890052 00010F03
	s_lshr_b32 s61, s82, 24                                    // 000000004D28: 8F3D9852
	s_and_b32 s82, s82, 0xffffff                               // 000000004D2C: 8652FF52 00FFFFFF
	s_mul_i32 s82, s82, s71                                    // 000000004D34: 92524752
	s_mul_i32 s61, s60, s61                                    // 000000004D38: 923D3D3C
	s_add_u32 s82, s82, s61                                    // 000000004D3C: 80523D52
	v_mul_lo_u32 v7, v4, s82                                   // 000000004D40: D2850007 0000A504
	v_add_u32_e32 v59, v6, v7                                  // 000000004D48: 68760F06
	v_readlane_b32 s82, v3, 8                                  // 000000004D4C: D2890052 00011103
	s_lshr_b32 s61, s82, 24                                    // 000000004D54: 8F3D9852
	s_and_b32 s82, s82, 0xffffff                               // 000000004D58: 8652FF52 00FFFFFF
	s_mul_i32 s82, s82, s71                                    // 000000004D60: 92524752
	s_mul_i32 s61, s60, s61                                    // 000000004D64: 923D3D3C
	s_add_u32 s82, s82, s61                                    // 000000004D68: 80523D52
	v_mul_lo_u32 v6, v5, s82                                   // 000000004D6C: D2850006 0000A505
	v_readlane_b32 s82, v3, 9                                  // 000000004D74: D2890052 00011303
	s_lshr_b32 s61, s82, 24                                    // 000000004D7C: 8F3D9852
	s_and_b32 s82, s82, 0xffffff                               // 000000004D80: 8652FF52 00FFFFFF
	s_mul_i32 s82, s82, s71                                    // 000000004D88: 92524752
	s_mul_i32 s61, s60, s61                                    // 000000004D8C: 923D3D3C
	s_add_u32 s82, s82, s61                                    // 000000004D90: 80523D52
	v_mul_lo_u32 v7, v4, s82                                   // 000000004D94: D2850007 0000A504
	v_add_u32_e32 v60, v6, v7                                  // 000000004D9C: 68780F06
	v_readlane_b32 s82, v3, 10                                 // 000000004DA0: D2890052 00011503
	s_lshr_b32 s61, s82, 24                                    // 000000004DA8: 8F3D9852
	s_and_b32 s82, s82, 0xffffff                               // 000000004DAC: 8652FF52 00FFFFFF
	s_mul_i32 s82, s82, s71                                    // 000000004DB4: 92524752
	s_mul_i32 s61, s60, s61                                    // 000000004DB8: 923D3D3C
	s_add_u32 s82, s82, s61                                    // 000000004DBC: 80523D52
	v_mul_lo_u32 v6, v5, s82                                   // 000000004DC0: D2850006 0000A505
	v_readlane_b32 s82, v3, 11                                 // 000000004DC8: D2890052 00011703
	s_lshr_b32 s61, s82, 24                                    // 000000004DD0: 8F3D9852
	s_and_b32 s82, s82, 0xffffff                               // 000000004DD4: 8652FF52 00FFFFFF
	s_mul_i32 s82, s82, s71                                    // 000000004DDC: 92524752
	s_mul_i32 s61, s60, s61                                    // 000000004DE0: 923D3D3C
	s_add_u32 s82, s82, s61                                    // 000000004DE4: 80523D52
	v_mul_lo_u32 v7, v4, s82                                   // 000000004DE8: D2850007 0000A504
	v_add_u32_e32 v61, v6, v7                                  // 000000004DF0: 687A0F06
	v_readlane_b32 s82, v3, 12                                 // 000000004DF4: D2890052 00011903
	s_lshr_b32 s61, s82, 24                                    // 000000004DFC: 8F3D9852
	s_and_b32 s82, s82, 0xffffff                               // 000000004E00: 8652FF52 00FFFFFF
	s_mul_i32 s82, s82, s71                                    // 000000004E08: 92524752
	s_mul_i32 s61, s60, s61                                    // 000000004E0C: 923D3D3C
	s_add_u32 s82, s82, s61                                    // 000000004E10: 80523D52
	v_mul_lo_u32 v6, v5, s82                                   // 000000004E14: D2850006 0000A505
	v_readlane_b32 s82, v3, 13                                 // 000000004E1C: D2890052 00011B03
	s_lshr_b32 s61, s82, 24                                    // 000000004E24: 8F3D9852
	s_and_b32 s82, s82, 0xffffff                               // 000000004E28: 8652FF52 00FFFFFF
	s_mul_i32 s82, s82, s71                                    // 000000004E30: 92524752
	s_mul_i32 s61, s60, s61                                    // 000000004E34: 923D3D3C
	s_add_u32 s82, s82, s61                                    // 000000004E38: 80523D52
	v_mul_lo_u32 v7, v4, s82                                   // 000000004E3C: D2850007 0000A504
	v_add_u32_e32 v62, v6, v7                                  // 000000004E44: 687C0F06
	v_readlane_b32 s82, v3, 14                                 // 000000004E48: D2890052 00011D03
	s_lshr_b32 s61, s82, 24                                    // 000000004E50: 8F3D9852
	s_and_b32 s82, s82, 0xffffff                               // 000000004E54: 8652FF52 00FFFFFF
	s_mul_i32 s82, s82, s71                                    // 000000004E5C: 92524752
	s_mul_i32 s61, s60, s61                                    // 000000004E60: 923D3D3C
	s_add_u32 s82, s82, s61                                    // 000000004E64: 80523D52
	v_mul_lo_u32 v6, v5, s82                                   // 000000004E68: D2850006 0000A505
	v_readlane_b32 s82, v3, 15                                 // 000000004E70: D2890052 00011F03
	s_lshr_b32 s61, s82, 24                                    // 000000004E78: 8F3D9852
	s_and_b32 s82, s82, 0xffffff                               // 000000004E7C: 8652FF52 00FFFFFF
	s_mul_i32 s82, s82, s71                                    // 000000004E84: 92524752
	s_mul_i32 s61, s60, s61                                    // 000000004E88: 923D3D3C
	s_add_u32 s82, s82, s61                                    // 000000004E8C: 80523D52
	v_mul_lo_u32 v7, v4, s82                                   // 000000004E90: D2850007 0000A504
	v_add_u32_e32 v63, v6, v7                                  // 000000004E98: 687E0F06
	v_readlane_b32 s82, v3, 16                                 // 000000004E9C: D2890052 00012103
	s_lshr_b32 s61, s82, 24                                    // 000000004EA4: 8F3D9852
	s_and_b32 s82, s82, 0xffffff                               // 000000004EA8: 8652FF52 00FFFFFF
	s_mul_i32 s82, s82, s71                                    // 000000004EB0: 92524752
	s_mul_i32 s61, s60, s61                                    // 000000004EB4: 923D3D3C
	s_add_u32 s82, s82, s61                                    // 000000004EB8: 80523D52
	v_mul_lo_u32 v6, v5, s82                                   // 000000004EBC: D2850006 0000A505
	v_readlane_b32 s82, v3, 17                                 // 000000004EC4: D2890052 00012303
	s_lshr_b32 s61, s82, 24                                    // 000000004ECC: 8F3D9852
	s_and_b32 s82, s82, 0xffffff                               // 000000004ED0: 8652FF52 00FFFFFF
	s_mul_i32 s82, s82, s71                                    // 000000004ED8: 92524752
	s_mul_i32 s61, s60, s61                                    // 000000004EDC: 923D3D3C
	s_add_u32 s82, s82, s61                                    // 000000004EE0: 80523D52
	v_mul_lo_u32 v7, v4, s82                                   // 000000004EE4: D2850007 0000A504
	v_add_u32_e32 v64, v6, v7                                  // 000000004EEC: 68800F06
	v_readlane_b32 s82, v3, 18                                 // 000000004EF0: D2890052 00012503
	s_lshr_b32 s61, s82, 24                                    // 000000004EF8: 8F3D9852
	s_and_b32 s82, s82, 0xffffff                               // 000000004EFC: 8652FF52 00FFFFFF
	s_mul_i32 s82, s82, s71                                    // 000000004F04: 92524752
	s_mul_i32 s61, s60, s61                                    // 000000004F08: 923D3D3C
	s_add_u32 s82, s82, s61                                    // 000000004F0C: 80523D52
	v_mul_lo_u32 v6, v5, s82                                   // 000000004F10: D2850006 0000A505
	v_readlane_b32 s82, v3, 19                                 // 000000004F18: D2890052 00012703
	s_lshr_b32 s61, s82, 24                                    // 000000004F20: 8F3D9852
	s_and_b32 s82, s82, 0xffffff                               // 000000004F24: 8652FF52 00FFFFFF
	s_mul_i32 s82, s82, s71                                    // 000000004F2C: 92524752
	s_mul_i32 s61, s60, s61                                    // 000000004F30: 923D3D3C
	s_add_u32 s82, s82, s61                                    // 000000004F34: 80523D52
	v_mul_lo_u32 v7, v4, s82                                   // 000000004F38: D2850007 0000A504
	v_add_u32_e32 v65, v6, v7                                  // 000000004F40: 68820F06
	v_readlane_b32 s82, v3, 20                                 // 000000004F44: D2890052 00012903
	s_lshr_b32 s61, s82, 24                                    // 000000004F4C: 8F3D9852
	s_and_b32 s82, s82, 0xffffff                               // 000000004F50: 8652FF52 00FFFFFF
	s_mul_i32 s82, s82, s71                                    // 000000004F58: 92524752
	s_mul_i32 s61, s60, s61                                    // 000000004F5C: 923D3D3C
	s_add_u32 s82, s82, s61                                    // 000000004F60: 80523D52
	v_mul_lo_u32 v6, v5, s82                                   // 000000004F64: D2850006 0000A505
	v_readlane_b32 s82, v3, 21                                 // 000000004F6C: D2890052 00012B03
	s_lshr_b32 s61, s82, 24                                    // 000000004F74: 8F3D9852
	s_and_b32 s82, s82, 0xffffff                               // 000000004F78: 8652FF52 00FFFFFF
	s_mul_i32 s82, s82, s71                                    // 000000004F80: 92524752
	s_mul_i32 s61, s60, s61                                    // 000000004F84: 923D3D3C
	s_add_u32 s82, s82, s61                                    // 000000004F88: 80523D52
	v_mul_lo_u32 v7, v4, s82                                   // 000000004F8C: D2850007 0000A504
	v_add_u32_e32 v66, v6, v7                                  // 000000004F94: 68840F06
	v_readlane_b32 s82, v3, 22                                 // 000000004F98: D2890052 00012D03
	s_lshr_b32 s61, s82, 24                                    // 000000004FA0: 8F3D9852
	s_and_b32 s82, s82, 0xffffff                               // 000000004FA4: 8652FF52 00FFFFFF
	s_mul_i32 s82, s82, s71                                    // 000000004FAC: 92524752
	s_mul_i32 s61, s60, s61                                    // 000000004FB0: 923D3D3C
	s_add_u32 s82, s82, s61                                    // 000000004FB4: 80523D52
	v_mul_lo_u32 v6, v5, s82                                   // 000000004FB8: D2850006 0000A505
	v_readlane_b32 s82, v3, 23                                 // 000000004FC0: D2890052 00012F03
	s_lshr_b32 s61, s82, 24                                    // 000000004FC8: 8F3D9852
	s_and_b32 s82, s82, 0xffffff                               // 000000004FCC: 8652FF52 00FFFFFF
	s_mul_i32 s82, s82, s71                                    // 000000004FD4: 92524752
	s_mul_i32 s61, s60, s61                                    // 000000004FD8: 923D3D3C
	s_add_u32 s82, s82, s61                                    // 000000004FDC: 80523D52
	v_mul_lo_u32 v7, v4, s82                                   // 000000004FE0: D2850007 0000A504
	v_add_u32_e32 v67, v6, v7                                  // 000000004FE8: 68860F06
	v_readlane_b32 s82, v3, 24                                 // 000000004FEC: D2890052 00013103
	s_lshr_b32 s61, s82, 24                                    // 000000004FF4: 8F3D9852
	s_and_b32 s82, s82, 0xffffff                               // 000000004FF8: 8652FF52 00FFFFFF
	s_mul_i32 s82, s82, s71                                    // 000000005000: 92524752
	s_mul_i32 s61, s60, s61                                    // 000000005004: 923D3D3C
	s_add_u32 s82, s82, s61                                    // 000000005008: 80523D52
	v_mul_lo_u32 v6, v5, s82                                   // 00000000500C: D2850006 0000A505
	v_readlane_b32 s82, v3, 25                                 // 000000005014: D2890052 00013303
	s_lshr_b32 s61, s82, 24                                    // 00000000501C: 8F3D9852
	s_and_b32 s82, s82, 0xffffff                               // 000000005020: 8652FF52 00FFFFFF
	s_mul_i32 s82, s82, s71                                    // 000000005028: 92524752
	s_mul_i32 s61, s60, s61                                    // 00000000502C: 923D3D3C
	s_add_u32 s82, s82, s61                                    // 000000005030: 80523D52
	v_mul_lo_u32 v7, v4, s82                                   // 000000005034: D2850007 0000A504
	v_add_u32_e32 v68, v6, v7                                  // 00000000503C: 68880F06
	v_readlane_b32 s82, v3, 26                                 // 000000005040: D2890052 00013503
	s_lshr_b32 s61, s82, 24                                    // 000000005048: 8F3D9852
	s_and_b32 s82, s82, 0xffffff                               // 00000000504C: 8652FF52 00FFFFFF
	s_mul_i32 s82, s82, s71                                    // 000000005054: 92524752
	s_mul_i32 s61, s60, s61                                    // 000000005058: 923D3D3C
	s_add_u32 s82, s82, s61                                    // 00000000505C: 80523D52
	v_mul_lo_u32 v6, v5, s82                                   // 000000005060: D2850006 0000A505
	v_readlane_b32 s82, v3, 27                                 // 000000005068: D2890052 00013703
	s_lshr_b32 s61, s82, 24                                    // 000000005070: 8F3D9852
	s_and_b32 s82, s82, 0xffffff                               // 000000005074: 8652FF52 00FFFFFF
	s_mul_i32 s82, s82, s71                                    // 00000000507C: 92524752
	s_mul_i32 s61, s60, s61                                    // 000000005080: 923D3D3C
	s_add_u32 s82, s82, s61                                    // 000000005084: 80523D52
	v_mul_lo_u32 v7, v4, s82                                   // 000000005088: D2850007 0000A504
	v_add_u32_e32 v69, v6, v7                                  // 000000005090: 688A0F06
	v_and_b32_e32 v4, 31, v0                                   // 000000005094: 2608009F
	v_lshrrev_b32_e32 v4, 1, v4                                // 000000005098: 20080881
	s_cmp_eq_u32 s88, 0                                        // 00000000509C: BF068058
	s_cselect_b32 s61, 2, 4                                    // 0000000050A0: 853D8482
	v_mul_lo_u32 v4, v4, s61                                   // 0000000050A4: D2850004 00007B04
	v_and_b32_e64 v5, v0, 1                                    // 0000000050AC: D1130005 00010300
	v_add_u32_e32 v4, v4, v5                                   // 0000000050B4: 68080B04
	v_lshlrev_b32_e32 v4, 2, v4                                // 0000000050B8: 24080882
	v_add_u32_e32 v56, v56, v4                                 // 0000000050BC: 68700938
	v_add_u32_e32 v57, v57, v4                                 // 0000000050C0: 68720939
	v_add_u32_e32 v58, v58, v4                                 // 0000000050C4: 6874093A
	v_add_u32_e32 v59, v59, v4                                 // 0000000050C8: 6876093B
	v_add_u32_e32 v60, v60, v4                                 // 0000000050CC: 6878093C
	v_add_u32_e32 v61, v61, v4                                 // 0000000050D0: 687A093D
	v_add_u32_e32 v62, v62, v4                                 // 0000000050D4: 687C093E
	v_add_u32_e32 v63, v63, v4                                 // 0000000050D8: 687E093F
	v_add_u32_e32 v64, v64, v4                                 // 0000000050DC: 68800940
	v_add_u32_e32 v65, v65, v4                                 // 0000000050E0: 68820941
	v_add_u32_e32 v66, v66, v4                                 // 0000000050E4: 68840942
	v_add_u32_e32 v67, v67, v4                                 // 0000000050E8: 68860943
	v_add_u32_e32 v68, v68, v4                                 // 0000000050EC: 68880944
	v_add_u32_e32 v69, v69, v4                                 // 0000000050F0: 688A0945
	s_waitcnt lgkmcnt(0)                                       // 0000000050F4: BF8CC07F
	s_barrier                                                  // 0000000050F8: BF8A0000
	ds_read_b32 v72, v21                                       // 0000000050FC: D86C0000 48000015
	ds_read_b32 v73, v21 offset:64                             // 000000005104: D86C0040 49000015
	ds_read_b32 v74, v21 offset:2176                           // 00000000510C: D86C0880 4A000015
	ds_read_b32 v75, v21 offset:2240                           // 000000005114: D86C08C0 4B000015
	ds_read_b32 v76, v21 offset:4352                           // 00000000511C: D86C1100 4C000015
	ds_read_b32 v77, v21 offset:4416                           // 000000005124: D86C1140 4D000015
	ds_read_b32 v78, v21 offset:6528                           // 00000000512C: D86C1980 4E000015
	ds_read_b32 v79, v21 offset:6592                           // 000000005134: D86C19C0 4F000015
	ds_read_b32 v80, v21 offset:8704                           // 00000000513C: D86C2200 50000015
	ds_read_b32 v81, v21 offset:8768                           // 000000005144: D86C2240 51000015
	ds_read_b32 v82, v21 offset:10880                          // 00000000514C: D86C2A80 52000015
	ds_read_b32 v83, v21 offset:10944                          // 000000005154: D86C2AC0 53000015
	ds_read_b32 v84, v21 offset:13056                          // 00000000515C: D86C3300 54000015
	ds_read_b32 v85, v21 offset:13120                          // 000000005164: D86C3340 55000015
	s_waitcnt lgkmcnt(0)                                       // 00000000516C: BF8CC07F
	s_mov_b32 s36, -1                                          // 000000005170: BEA400C1
	s_mov_b32 s37, -1                                          // 000000005174: BEA500C1
	v_mov_b32_e32 v7, 0                                        // 000000005178: 7E0E0280
	s_or_b32 s9, s9, 0x40000                                   // 00000000517C: 8709FF09 00040000
	s_mov_b64 exec, s[36:37]                                   // 000000005184: BEFE0124
	v_mov_b32_e32 v6, v56                                      // 000000005188: 7E0C0338
	s_mov_b64 s[60:61], 0                                      // 00000000518C: BEBC0180
	v_readlane_b32 s82, v3, 0                                  // 000000005190: D2890052 00010103
	s_and_b32 s82, s82, 0xffffff                               // 000000005198: 8652FF52 00FFFFFF
	s_cmp_lt_u32 s82, s66                                      // 0000000051A0: BF0A4252
	s_cselect_b32 s20, s36, s60                                // 0000000051A4: 85143C24
	v_readlane_b32 s82, v3, 1                                  // 0000000051A8: D2890052 00010303
	s_and_b32 s82, s82, 0xffffff                               // 0000000051B0: 8652FF52 00FFFFFF
	s_cmp_lt_u32 s82, s66                                      // 0000000051B8: BF0A4252
	s_cselect_b32 s21, s36, s60                                // 0000000051BC: 85153C24
	s_mov_b64 exec, s[20:21]                                   // 0000000051C0: BEFE0114
	buffer_store_dword v72, v6, s[8:11], 0 offen               // 0000000051C4: E0701000 80024806
	s_mov_b64 exec, s[36:37]                                   // 0000000051CC: BEFE0124
	v_mov_b32_e32 v6, v57                                      // 0000000051D0: 7E0C0339
	s_mov_b64 s[60:61], 0                                      // 0000000051D4: BEBC0180
	v_readlane_b32 s82, v3, 2                                  // 0000000051D8: D2890052 00010503
	s_and_b32 s82, s82, 0xffffff                               // 0000000051E0: 8652FF52 00FFFFFF
	s_cmp_lt_u32 s82, s66                                      // 0000000051E8: BF0A4252
	s_cselect_b32 s20, s36, s60                                // 0000000051EC: 85143C24
	v_readlane_b32 s82, v3, 3                                  // 0000000051F0: D2890052 00010703
	s_and_b32 s82, s82, 0xffffff                               // 0000000051F8: 8652FF52 00FFFFFF
	s_cmp_lt_u32 s82, s66                                      // 000000005200: BF0A4252
	s_cselect_b32 s21, s36, s60                                // 000000005204: 85153C24
	s_mov_b64 exec, s[20:21]                                   // 000000005208: BEFE0114
	buffer_store_dword v73, v6, s[8:11], 0 offen               // 00000000520C: E0701000 80024906
	s_mov_b64 exec, s[36:37]                                   // 000000005214: BEFE0124
	v_mov_b32_e32 v6, v58                                      // 000000005218: 7E0C033A
	s_mov_b64 s[60:61], 0                                      // 00000000521C: BEBC0180
	v_readlane_b32 s82, v3, 4                                  // 000000005220: D2890052 00010903
	s_and_b32 s82, s82, 0xffffff                               // 000000005228: 8652FF52 00FFFFFF
	s_cmp_lt_u32 s82, s66                                      // 000000005230: BF0A4252
	s_cselect_b32 s20, s36, s60                                // 000000005234: 85143C24
	v_readlane_b32 s82, v3, 5                                  // 000000005238: D2890052 00010B03
	s_and_b32 s82, s82, 0xffffff                               // 000000005240: 8652FF52 00FFFFFF
	s_cmp_lt_u32 s82, s66                                      // 000000005248: BF0A4252
	s_cselect_b32 s21, s36, s60                                // 00000000524C: 85153C24
	s_mov_b64 exec, s[20:21]                                   // 000000005250: BEFE0114
	buffer_store_dword v74, v6, s[8:11], 0 offen               // 000000005254: E0701000 80024A06
	s_mov_b64 exec, s[36:37]                                   // 00000000525C: BEFE0124
	v_mov_b32_e32 v6, v59                                      // 000000005260: 7E0C033B
	s_mov_b64 s[60:61], 0                                      // 000000005264: BEBC0180
	v_readlane_b32 s82, v3, 6                                  // 000000005268: D2890052 00010D03
	s_and_b32 s82, s82, 0xffffff                               // 000000005270: 8652FF52 00FFFFFF
	s_cmp_lt_u32 s82, s66                                      // 000000005278: BF0A4252
	s_cselect_b32 s20, s36, s60                                // 00000000527C: 85143C24
	v_readlane_b32 s82, v3, 7                                  // 000000005280: D2890052 00010F03
	s_and_b32 s82, s82, 0xffffff                               // 000000005288: 8652FF52 00FFFFFF
	s_cmp_lt_u32 s82, s66                                      // 000000005290: BF0A4252
	s_cselect_b32 s21, s36, s60                                // 000000005294: 85153C24
	s_mov_b64 exec, s[20:21]                                   // 000000005298: BEFE0114
	buffer_store_dword v75, v6, s[8:11], 0 offen               // 00000000529C: E0701000 80024B06
	s_mov_b64 exec, s[36:37]                                   // 0000000052A4: BEFE0124
	v_mov_b32_e32 v6, v60                                      // 0000000052A8: 7E0C033C
	s_mov_b64 s[60:61], 0                                      // 0000000052AC: BEBC0180
	v_readlane_b32 s82, v3, 8                                  // 0000000052B0: D2890052 00011103
	s_and_b32 s82, s82, 0xffffff                               // 0000000052B8: 8652FF52 00FFFFFF
	s_cmp_lt_u32 s82, s66                                      // 0000000052C0: BF0A4252
	s_cselect_b32 s20, s36, s60                                // 0000000052C4: 85143C24
	v_readlane_b32 s82, v3, 9                                  // 0000000052C8: D2890052 00011303
	s_and_b32 s82, s82, 0xffffff                               // 0000000052D0: 8652FF52 00FFFFFF
	s_cmp_lt_u32 s82, s66                                      // 0000000052D8: BF0A4252
	s_cselect_b32 s21, s36, s60                                // 0000000052DC: 85153C24
	s_mov_b64 exec, s[20:21]                                   // 0000000052E0: BEFE0114
	buffer_store_dword v76, v6, s[8:11], 0 offen               // 0000000052E4: E0701000 80024C06
	s_mov_b64 exec, s[36:37]                                   // 0000000052EC: BEFE0124
	v_mov_b32_e32 v6, v61                                      // 0000000052F0: 7E0C033D
	s_mov_b64 s[60:61], 0                                      // 0000000052F4: BEBC0180
	v_readlane_b32 s82, v3, 10                                 // 0000000052F8: D2890052 00011503
	s_and_b32 s82, s82, 0xffffff                               // 000000005300: 8652FF52 00FFFFFF
	s_cmp_lt_u32 s82, s66                                      // 000000005308: BF0A4252
	s_cselect_b32 s20, s36, s60                                // 00000000530C: 85143C24
	v_readlane_b32 s82, v3, 11                                 // 000000005310: D2890052 00011703
	s_and_b32 s82, s82, 0xffffff                               // 000000005318: 8652FF52 00FFFFFF
	s_cmp_lt_u32 s82, s66                                      // 000000005320: BF0A4252
	s_cselect_b32 s21, s36, s60                                // 000000005324: 85153C24
	s_mov_b64 exec, s[20:21]                                   // 000000005328: BEFE0114
	buffer_store_dword v77, v6, s[8:11], 0 offen               // 00000000532C: E0701000 80024D06
	s_mov_b64 exec, s[36:37]                                   // 000000005334: BEFE0124
	v_mov_b32_e32 v6, v62                                      // 000000005338: 7E0C033E
	s_mov_b64 s[60:61], 0                                      // 00000000533C: BEBC0180
	v_readlane_b32 s82, v3, 12                                 // 000000005340: D2890052 00011903
	s_and_b32 s82, s82, 0xffffff                               // 000000005348: 8652FF52 00FFFFFF
	s_cmp_lt_u32 s82, s66                                      // 000000005350: BF0A4252
	s_cselect_b32 s20, s36, s60                                // 000000005354: 85143C24
	v_readlane_b32 s82, v3, 13                                 // 000000005358: D2890052 00011B03
	s_and_b32 s82, s82, 0xffffff                               // 000000005360: 8652FF52 00FFFFFF
	s_cmp_lt_u32 s82, s66                                      // 000000005368: BF0A4252
	s_cselect_b32 s21, s36, s60                                // 00000000536C: 85153C24
	s_mov_b64 exec, s[20:21]                                   // 000000005370: BEFE0114
	buffer_store_dword v78, v6, s[8:11], 0 offen               // 000000005374: E0701000 80024E06
	s_mov_b64 exec, s[36:37]                                   // 00000000537C: BEFE0124
	v_mov_b32_e32 v6, v63                                      // 000000005380: 7E0C033F
	s_mov_b64 s[60:61], 0                                      // 000000005384: BEBC0180
	v_readlane_b32 s82, v3, 14                                 // 000000005388: D2890052 00011D03
	s_and_b32 s82, s82, 0xffffff                               // 000000005390: 8652FF52 00FFFFFF
	s_cmp_lt_u32 s82, s66                                      // 000000005398: BF0A4252
	s_cselect_b32 s20, s36, s60                                // 00000000539C: 85143C24
	v_readlane_b32 s82, v3, 15                                 // 0000000053A0: D2890052 00011F03
	s_and_b32 s82, s82, 0xffffff                               // 0000000053A8: 8652FF52 00FFFFFF
	s_cmp_lt_u32 s82, s66                                      // 0000000053B0: BF0A4252
	s_cselect_b32 s21, s36, s60                                // 0000000053B4: 85153C24
	s_mov_b64 exec, s[20:21]                                   // 0000000053B8: BEFE0114
	buffer_store_dword v79, v6, s[8:11], 0 offen               // 0000000053BC: E0701000 80024F06
	s_mov_b64 exec, s[36:37]                                   // 0000000053C4: BEFE0124
	v_mov_b32_e32 v6, v64                                      // 0000000053C8: 7E0C0340
	s_mov_b64 s[60:61], 0                                      // 0000000053CC: BEBC0180
	v_readlane_b32 s82, v3, 16                                 // 0000000053D0: D2890052 00012103
	s_and_b32 s82, s82, 0xffffff                               // 0000000053D8: 8652FF52 00FFFFFF
	s_cmp_lt_u32 s82, s66                                      // 0000000053E0: BF0A4252
	s_cselect_b32 s20, s36, s60                                // 0000000053E4: 85143C24
	v_readlane_b32 s82, v3, 17                                 // 0000000053E8: D2890052 00012303
	s_and_b32 s82, s82, 0xffffff                               // 0000000053F0: 8652FF52 00FFFFFF
	s_cmp_lt_u32 s82, s66                                      // 0000000053F8: BF0A4252
	s_cselect_b32 s21, s36, s60                                // 0000000053FC: 85153C24
	s_mov_b64 exec, s[20:21]                                   // 000000005400: BEFE0114
	buffer_store_dword v80, v6, s[8:11], 0 offen               // 000000005404: E0701000 80025006
	s_mov_b64 exec, s[36:37]                                   // 00000000540C: BEFE0124
	v_mov_b32_e32 v6, v65                                      // 000000005410: 7E0C0341
	s_mov_b64 s[60:61], 0                                      // 000000005414: BEBC0180
	v_readlane_b32 s82, v3, 18                                 // 000000005418: D2890052 00012503
	s_and_b32 s82, s82, 0xffffff                               // 000000005420: 8652FF52 00FFFFFF
	s_cmp_lt_u32 s82, s66                                      // 000000005428: BF0A4252
	s_cselect_b32 s20, s36, s60                                // 00000000542C: 85143C24
	v_readlane_b32 s82, v3, 19                                 // 000000005430: D2890052 00012703
	s_and_b32 s82, s82, 0xffffff                               // 000000005438: 8652FF52 00FFFFFF
	s_cmp_lt_u32 s82, s66                                      // 000000005440: BF0A4252
	s_cselect_b32 s21, s36, s60                                // 000000005444: 85153C24
	s_mov_b64 exec, s[20:21]                                   // 000000005448: BEFE0114
	buffer_store_dword v81, v6, s[8:11], 0 offen               // 00000000544C: E0701000 80025106
	s_mov_b64 exec, s[36:37]                                   // 000000005454: BEFE0124
	v_mov_b32_e32 v6, v66                                      // 000000005458: 7E0C0342
	s_mov_b64 s[60:61], 0                                      // 00000000545C: BEBC0180
	v_readlane_b32 s82, v3, 20                                 // 000000005460: D2890052 00012903
	s_and_b32 s82, s82, 0xffffff                               // 000000005468: 8652FF52 00FFFFFF
	s_cmp_lt_u32 s82, s66                                      // 000000005470: BF0A4252
	s_cselect_b32 s20, s36, s60                                // 000000005474: 85143C24
	v_readlane_b32 s82, v3, 21                                 // 000000005478: D2890052 00012B03
	s_and_b32 s82, s82, 0xffffff                               // 000000005480: 8652FF52 00FFFFFF
	s_cmp_lt_u32 s82, s66                                      // 000000005488: BF0A4252
	s_cselect_b32 s21, s36, s60                                // 00000000548C: 85153C24
	s_mov_b64 exec, s[20:21]                                   // 000000005490: BEFE0114
	buffer_store_dword v82, v6, s[8:11], 0 offen               // 000000005494: E0701000 80025206
	s_mov_b64 exec, s[36:37]                                   // 00000000549C: BEFE0124
	v_mov_b32_e32 v6, v67                                      // 0000000054A0: 7E0C0343
	s_mov_b64 s[60:61], 0                                      // 0000000054A4: BEBC0180
	v_readlane_b32 s82, v3, 22                                 // 0000000054A8: D2890052 00012D03
	s_and_b32 s82, s82, 0xffffff                               // 0000000054B0: 8652FF52 00FFFFFF
	s_cmp_lt_u32 s82, s66                                      // 0000000054B8: BF0A4252
	s_cselect_b32 s20, s36, s60                                // 0000000054BC: 85143C24
	v_readlane_b32 s82, v3, 23                                 // 0000000054C0: D2890052 00012F03
	s_and_b32 s82, s82, 0xffffff                               // 0000000054C8: 8652FF52 00FFFFFF
	s_cmp_lt_u32 s82, s66                                      // 0000000054D0: BF0A4252
	s_cselect_b32 s21, s36, s60                                // 0000000054D4: 85153C24
	s_mov_b64 exec, s[20:21]                                   // 0000000054D8: BEFE0114
	buffer_store_dword v83, v6, s[8:11], 0 offen               // 0000000054DC: E0701000 80025306
	s_mov_b64 exec, s[36:37]                                   // 0000000054E4: BEFE0124
	v_mov_b32_e32 v6, v68                                      // 0000000054E8: 7E0C0344
	s_mov_b64 s[60:61], 0                                      // 0000000054EC: BEBC0180
	v_readlane_b32 s82, v3, 24                                 // 0000000054F0: D2890052 00013103
	s_and_b32 s82, s82, 0xffffff                               // 0000000054F8: 8652FF52 00FFFFFF
	s_cmp_lt_u32 s82, s66                                      // 000000005500: BF0A4252
	s_cselect_b32 s20, s36, s60                                // 000000005504: 85143C24
	v_readlane_b32 s82, v3, 25                                 // 000000005508: D2890052 00013303
	s_and_b32 s82, s82, 0xffffff                               // 000000005510: 8652FF52 00FFFFFF
	s_cmp_lt_u32 s82, s66                                      // 000000005518: BF0A4252
	s_cselect_b32 s21, s36, s60                                // 00000000551C: 85153C24
	s_mov_b64 exec, s[20:21]                                   // 000000005520: BEFE0114
	buffer_store_dword v84, v6, s[8:11], 0 offen               // 000000005524: E0701000 80025406
	s_mov_b64 exec, s[36:37]                                   // 00000000552C: BEFE0124
	v_mov_b32_e32 v6, v69                                      // 000000005530: 7E0C0345
	s_mov_b64 s[60:61], 0                                      // 000000005534: BEBC0180
	v_readlane_b32 s82, v3, 26                                 // 000000005538: D2890052 00013503
	s_and_b32 s82, s82, 0xffffff                               // 000000005540: 8652FF52 00FFFFFF
	s_cmp_lt_u32 s82, s66                                      // 000000005548: BF0A4252
	s_cselect_b32 s20, s36, s60                                // 00000000554C: 85143C24
	v_readlane_b32 s82, v3, 27                                 // 000000005550: D2890052 00013703
	s_and_b32 s82, s82, 0xffffff                               // 000000005558: 8652FF52 00FFFFFF
	s_cmp_lt_u32 s82, s66                                      // 000000005560: BF0A4252
	s_cselect_b32 s21, s36, s60                                // 000000005564: 85153C24
	s_mov_b64 exec, s[20:21]                                   // 000000005568: BEFE0114
	buffer_store_dword v85, v6, s[8:11], 0 offen               // 00000000556C: E0701000 80025506
	s_mov_b64 exec, s[36:37]                                   // 000000005574: BEFE0124
	s_branch label_1E8B                                        // 000000005578: BF8213A9

000000000000557c <label_0ADF>:
	ds_write_b64 v20, v[72:73]                                 // 00000000557C: D89A0000 00004814
	ds_write_b64 v20, v[76:77] offset:2176                     // 000000005584: D89A0880 00004C14
	ds_write_b64 v20, v[80:81] offset:4352                     // 00000000558C: D89A1100 00005014
	ds_write_b64 v20, v[84:85] offset:6528                     // 000000005594: D89A1980 00005414
	ds_write_b64 v20, v[88:89] offset:8704                     // 00000000559C: D89A2200 00005814
	ds_write_b64 v20, v[92:93] offset:10880                    // 0000000055A4: D89A2A80 00005C14
	ds_write_b64 v20, v[96:97] offset:13056                    // 0000000055AC: D89A3300 00006014
	v_lshrrev_b32_e32 v4, 5, v0                                // 0000000055B4: 20080085
	v_xor_b32_e32 v5, 1, v4                                    // 0000000055B8: 2A0A0881
	s_mul_i32 s60, s65, 2                                      // 0000000055BC: 923C8241
	s_cmp_eq_u32 s88, 0                                        // 0000000055C0: BF068058
	s_cselect_b32 s61, 1, 4                                    // 0000000055C4: 853D8481
	s_mul_i32 s60, s61, s60                                    // 0000000055C8: 923C3C3D
	v_readlane_b32 s82, v3, 0                                  // 0000000055CC: D2890052 00010103
	s_lshr_b32 s61, s82, 24                                    // 0000000055D4: 8F3D9852
	s_and_b32 s82, s82, 0xffffff                               // 0000000055D8: 8652FF52 00FFFFFF
	s_mul_i32 s82, s82, s71                                    // 0000000055E0: 92524752
	s_mul_i32 s61, s60, s61                                    // 0000000055E4: 923D3D3C
	s_add_u32 s82, s82, s61                                    // 0000000055E8: 80523D52
	v_mul_lo_u32 v6, v5, s82                                   // 0000000055EC: D2850006 0000A505
	v_readlane_b32 s82, v3, 1                                  // 0000000055F4: D2890052 00010303
	s_lshr_b32 s61, s82, 24                                    // 0000000055FC: 8F3D9852
	s_and_b32 s82, s82, 0xffffff                               // 000000005600: 8652FF52 00FFFFFF
	s_mul_i32 s82, s82, s71                                    // 000000005608: 92524752
	s_mul_i32 s61, s60, s61                                    // 00000000560C: 923D3D3C
	s_add_u32 s82, s82, s61                                    // 000000005610: 80523D52
	v_mul_lo_u32 v7, v4, s82                                   // 000000005614: D2850007 0000A504
	v_add_u32_e32 v56, v6, v7                                  // 00000000561C: 68700F06
	v_readlane_b32 s82, v3, 2                                  // 000000005620: D2890052 00010503
	s_lshr_b32 s61, s82, 24                                    // 000000005628: 8F3D9852
	s_and_b32 s82, s82, 0xffffff                               // 00000000562C: 8652FF52 00FFFFFF
	s_mul_i32 s82, s82, s71                                    // 000000005634: 92524752
	s_mul_i32 s61, s60, s61                                    // 000000005638: 923D3D3C
	s_add_u32 s82, s82, s61                                    // 00000000563C: 80523D52
	v_mul_lo_u32 v6, v5, s82                                   // 000000005640: D2850006 0000A505
	v_readlane_b32 s82, v3, 3                                  // 000000005648: D2890052 00010703
	s_lshr_b32 s61, s82, 24                                    // 000000005650: 8F3D9852
	s_and_b32 s82, s82, 0xffffff                               // 000000005654: 8652FF52 00FFFFFF
	s_mul_i32 s82, s82, s71                                    // 00000000565C: 92524752
	s_mul_i32 s61, s60, s61                                    // 000000005660: 923D3D3C
	s_add_u32 s82, s82, s61                                    // 000000005664: 80523D52
	v_mul_lo_u32 v7, v4, s82                                   // 000000005668: D2850007 0000A504
	v_add_u32_e32 v57, v6, v7                                  // 000000005670: 68720F06
	v_readlane_b32 s82, v3, 4                                  // 000000005674: D2890052 00010903
	s_lshr_b32 s61, s82, 24                                    // 00000000567C: 8F3D9852
	s_and_b32 s82, s82, 0xffffff                               // 000000005680: 8652FF52 00FFFFFF
	s_mul_i32 s82, s82, s71                                    // 000000005688: 92524752
	s_mul_i32 s61, s60, s61                                    // 00000000568C: 923D3D3C
	s_add_u32 s82, s82, s61                                    // 000000005690: 80523D52
	v_mul_lo_u32 v6, v5, s82                                   // 000000005694: D2850006 0000A505
	v_readlane_b32 s82, v3, 5                                  // 00000000569C: D2890052 00010B03
	s_lshr_b32 s61, s82, 24                                    // 0000000056A4: 8F3D9852
	s_and_b32 s82, s82, 0xffffff                               // 0000000056A8: 8652FF52 00FFFFFF
	s_mul_i32 s82, s82, s71                                    // 0000000056B0: 92524752
	s_mul_i32 s61, s60, s61                                    // 0000000056B4: 923D3D3C
	s_add_u32 s82, s82, s61                                    // 0000000056B8: 80523D52
	v_mul_lo_u32 v7, v4, s82                                   // 0000000056BC: D2850007 0000A504
	v_add_u32_e32 v58, v6, v7                                  // 0000000056C4: 68740F06
	v_readlane_b32 s82, v3, 6                                  // 0000000056C8: D2890052 00010D03
	s_lshr_b32 s61, s82, 24                                    // 0000000056D0: 8F3D9852
	s_and_b32 s82, s82, 0xffffff                               // 0000000056D4: 8652FF52 00FFFFFF
	s_mul_i32 s82, s82, s71                                    // 0000000056DC: 92524752
	s_mul_i32 s61, s60, s61                                    // 0000000056E0: 923D3D3C
	s_add_u32 s82, s82, s61                                    // 0000000056E4: 80523D52
	v_mul_lo_u32 v6, v5, s82                                   // 0000000056E8: D2850006 0000A505
	v_readlane_b32 s82, v3, 7                                  // 0000000056F0: D2890052 00010F03
	s_lshr_b32 s61, s82, 24                                    // 0000000056F8: 8F3D9852
	s_and_b32 s82, s82, 0xffffff                               // 0000000056FC: 8652FF52 00FFFFFF
	s_mul_i32 s82, s82, s71                                    // 000000005704: 92524752
	s_mul_i32 s61, s60, s61                                    // 000000005708: 923D3D3C
	s_add_u32 s82, s82, s61                                    // 00000000570C: 80523D52
	v_mul_lo_u32 v7, v4, s82                                   // 000000005710: D2850007 0000A504
	v_add_u32_e32 v59, v6, v7                                  // 000000005718: 68760F06
	v_readlane_b32 s82, v3, 8                                  // 00000000571C: D2890052 00011103
	s_lshr_b32 s61, s82, 24                                    // 000000005724: 8F3D9852
	s_and_b32 s82, s82, 0xffffff                               // 000000005728: 8652FF52 00FFFFFF
	s_mul_i32 s82, s82, s71                                    // 000000005730: 92524752
	s_mul_i32 s61, s60, s61                                    // 000000005734: 923D3D3C
	s_add_u32 s82, s82, s61                                    // 000000005738: 80523D52
	v_mul_lo_u32 v6, v5, s82                                   // 00000000573C: D2850006 0000A505
	v_readlane_b32 s82, v3, 9                                  // 000000005744: D2890052 00011303
	s_lshr_b32 s61, s82, 24                                    // 00000000574C: 8F3D9852
	s_and_b32 s82, s82, 0xffffff                               // 000000005750: 8652FF52 00FFFFFF
	s_mul_i32 s82, s82, s71                                    // 000000005758: 92524752
	s_mul_i32 s61, s60, s61                                    // 00000000575C: 923D3D3C
	s_add_u32 s82, s82, s61                                    // 000000005760: 80523D52
	v_mul_lo_u32 v7, v4, s82                                   // 000000005764: D2850007 0000A504
	v_add_u32_e32 v60, v6, v7                                  // 00000000576C: 68780F06
	v_readlane_b32 s82, v3, 10                                 // 000000005770: D2890052 00011503
	s_lshr_b32 s61, s82, 24                                    // 000000005778: 8F3D9852
	s_and_b32 s82, s82, 0xffffff                               // 00000000577C: 8652FF52 00FFFFFF
	s_mul_i32 s82, s82, s71                                    // 000000005784: 92524752
	s_mul_i32 s61, s60, s61                                    // 000000005788: 923D3D3C
	s_add_u32 s82, s82, s61                                    // 00000000578C: 80523D52
	v_mul_lo_u32 v6, v5, s82                                   // 000000005790: D2850006 0000A505
	v_readlane_b32 s82, v3, 11                                 // 000000005798: D2890052 00011703
	s_lshr_b32 s61, s82, 24                                    // 0000000057A0: 8F3D9852
	s_and_b32 s82, s82, 0xffffff                               // 0000000057A4: 8652FF52 00FFFFFF
	s_mul_i32 s82, s82, s71                                    // 0000000057AC: 92524752
	s_mul_i32 s61, s60, s61                                    // 0000000057B0: 923D3D3C
	s_add_u32 s82, s82, s61                                    // 0000000057B4: 80523D52
	v_mul_lo_u32 v7, v4, s82                                   // 0000000057B8: D2850007 0000A504
	v_add_u32_e32 v61, v6, v7                                  // 0000000057C0: 687A0F06
	v_readlane_b32 s82, v3, 12                                 // 0000000057C4: D2890052 00011903
	s_lshr_b32 s61, s82, 24                                    // 0000000057CC: 8F3D9852
	s_and_b32 s82, s82, 0xffffff                               // 0000000057D0: 8652FF52 00FFFFFF
	s_mul_i32 s82, s82, s71                                    // 0000000057D8: 92524752
	s_mul_i32 s61, s60, s61                                    // 0000000057DC: 923D3D3C
	s_add_u32 s82, s82, s61                                    // 0000000057E0: 80523D52
	v_mul_lo_u32 v6, v5, s82                                   // 0000000057E4: D2850006 0000A505
	v_readlane_b32 s82, v3, 13                                 // 0000000057EC: D2890052 00011B03
	s_lshr_b32 s61, s82, 24                                    // 0000000057F4: 8F3D9852
	s_and_b32 s82, s82, 0xffffff                               // 0000000057F8: 8652FF52 00FFFFFF
	s_mul_i32 s82, s82, s71                                    // 000000005800: 92524752
	s_mul_i32 s61, s60, s61                                    // 000000005804: 923D3D3C
	s_add_u32 s82, s82, s61                                    // 000000005808: 80523D52
	v_mul_lo_u32 v7, v4, s82                                   // 00000000580C: D2850007 0000A504
	v_add_u32_e32 v62, v6, v7                                  // 000000005814: 687C0F06
	v_readlane_b32 s82, v3, 14                                 // 000000005818: D2890052 00011D03
	s_lshr_b32 s61, s82, 24                                    // 000000005820: 8F3D9852
	s_and_b32 s82, s82, 0xffffff                               // 000000005824: 8652FF52 00FFFFFF
	s_mul_i32 s82, s82, s71                                    // 00000000582C: 92524752
	s_mul_i32 s61, s60, s61                                    // 000000005830: 923D3D3C
	s_add_u32 s82, s82, s61                                    // 000000005834: 80523D52
	v_mul_lo_u32 v6, v5, s82                                   // 000000005838: D2850006 0000A505
	v_readlane_b32 s82, v3, 15                                 // 000000005840: D2890052 00011F03
	s_lshr_b32 s61, s82, 24                                    // 000000005848: 8F3D9852
	s_and_b32 s82, s82, 0xffffff                               // 00000000584C: 8652FF52 00FFFFFF
	s_mul_i32 s82, s82, s71                                    // 000000005854: 92524752
	s_mul_i32 s61, s60, s61                                    // 000000005858: 923D3D3C
	s_add_u32 s82, s82, s61                                    // 00000000585C: 80523D52
	v_mul_lo_u32 v7, v4, s82                                   // 000000005860: D2850007 0000A504
	v_add_u32_e32 v63, v6, v7                                  // 000000005868: 687E0F06
	v_readlane_b32 s82, v3, 16                                 // 00000000586C: D2890052 00012103
	s_lshr_b32 s61, s82, 24                                    // 000000005874: 8F3D9852
	s_and_b32 s82, s82, 0xffffff                               // 000000005878: 8652FF52 00FFFFFF
	s_mul_i32 s82, s82, s71                                    // 000000005880: 92524752
	s_mul_i32 s61, s60, s61                                    // 000000005884: 923D3D3C
	s_add_u32 s82, s82, s61                                    // 000000005888: 80523D52
	v_mul_lo_u32 v6, v5, s82                                   // 00000000588C: D2850006 0000A505
	v_readlane_b32 s82, v3, 17                                 // 000000005894: D2890052 00012303
	s_lshr_b32 s61, s82, 24                                    // 00000000589C: 8F3D9852
	s_and_b32 s82, s82, 0xffffff                               // 0000000058A0: 8652FF52 00FFFFFF
	s_mul_i32 s82, s82, s71                                    // 0000000058A8: 92524752
	s_mul_i32 s61, s60, s61                                    // 0000000058AC: 923D3D3C
	s_add_u32 s82, s82, s61                                    // 0000000058B0: 80523D52
	v_mul_lo_u32 v7, v4, s82                                   // 0000000058B4: D2850007 0000A504
	v_add_u32_e32 v64, v6, v7                                  // 0000000058BC: 68800F06
	v_readlane_b32 s82, v3, 18                                 // 0000000058C0: D2890052 00012503
	s_lshr_b32 s61, s82, 24                                    // 0000000058C8: 8F3D9852
	s_and_b32 s82, s82, 0xffffff                               // 0000000058CC: 8652FF52 00FFFFFF
	s_mul_i32 s82, s82, s71                                    // 0000000058D4: 92524752
	s_mul_i32 s61, s60, s61                                    // 0000000058D8: 923D3D3C
	s_add_u32 s82, s82, s61                                    // 0000000058DC: 80523D52
	v_mul_lo_u32 v6, v5, s82                                   // 0000000058E0: D2850006 0000A505
	v_readlane_b32 s82, v3, 19                                 // 0000000058E8: D2890052 00012703
	s_lshr_b32 s61, s82, 24                                    // 0000000058F0: 8F3D9852
	s_and_b32 s82, s82, 0xffffff                               // 0000000058F4: 8652FF52 00FFFFFF
	s_mul_i32 s82, s82, s71                                    // 0000000058FC: 92524752
	s_mul_i32 s61, s60, s61                                    // 000000005900: 923D3D3C
	s_add_u32 s82, s82, s61                                    // 000000005904: 80523D52
	v_mul_lo_u32 v7, v4, s82                                   // 000000005908: D2850007 0000A504
	v_add_u32_e32 v65, v6, v7                                  // 000000005910: 68820F06
	v_readlane_b32 s82, v3, 20                                 // 000000005914: D2890052 00012903
	s_lshr_b32 s61, s82, 24                                    // 00000000591C: 8F3D9852
	s_and_b32 s82, s82, 0xffffff                               // 000000005920: 8652FF52 00FFFFFF
	s_mul_i32 s82, s82, s71                                    // 000000005928: 92524752
	s_mul_i32 s61, s60, s61                                    // 00000000592C: 923D3D3C
	s_add_u32 s82, s82, s61                                    // 000000005930: 80523D52
	v_mul_lo_u32 v6, v5, s82                                   // 000000005934: D2850006 0000A505
	v_readlane_b32 s82, v3, 21                                 // 00000000593C: D2890052 00012B03
	s_lshr_b32 s61, s82, 24                                    // 000000005944: 8F3D9852
	s_and_b32 s82, s82, 0xffffff                               // 000000005948: 8652FF52 00FFFFFF
	s_mul_i32 s82, s82, s71                                    // 000000005950: 92524752
	s_mul_i32 s61, s60, s61                                    // 000000005954: 923D3D3C
	s_add_u32 s82, s82, s61                                    // 000000005958: 80523D52
	v_mul_lo_u32 v7, v4, s82                                   // 00000000595C: D2850007 0000A504
	v_add_u32_e32 v66, v6, v7                                  // 000000005964: 68840F06
	v_readlane_b32 s82, v3, 22                                 // 000000005968: D2890052 00012D03
	s_lshr_b32 s61, s82, 24                                    // 000000005970: 8F3D9852
	s_and_b32 s82, s82, 0xffffff                               // 000000005974: 8652FF52 00FFFFFF
	s_mul_i32 s82, s82, s71                                    // 00000000597C: 92524752
	s_mul_i32 s61, s60, s61                                    // 000000005980: 923D3D3C
	s_add_u32 s82, s82, s61                                    // 000000005984: 80523D52
	v_mul_lo_u32 v6, v5, s82                                   // 000000005988: D2850006 0000A505
	v_readlane_b32 s82, v3, 23                                 // 000000005990: D2890052 00012F03
	s_lshr_b32 s61, s82, 24                                    // 000000005998: 8F3D9852
	s_and_b32 s82, s82, 0xffffff                               // 00000000599C: 8652FF52 00FFFFFF
	s_mul_i32 s82, s82, s71                                    // 0000000059A4: 92524752
	s_mul_i32 s61, s60, s61                                    // 0000000059A8: 923D3D3C
	s_add_u32 s82, s82, s61                                    // 0000000059AC: 80523D52
	v_mul_lo_u32 v7, v4, s82                                   // 0000000059B0: D2850007 0000A504
	v_add_u32_e32 v67, v6, v7                                  // 0000000059B8: 68860F06
	v_readlane_b32 s82, v3, 24                                 // 0000000059BC: D2890052 00013103
	s_lshr_b32 s61, s82, 24                                    // 0000000059C4: 8F3D9852
	s_and_b32 s82, s82, 0xffffff                               // 0000000059C8: 8652FF52 00FFFFFF
	s_mul_i32 s82, s82, s71                                    // 0000000059D0: 92524752
	s_mul_i32 s61, s60, s61                                    // 0000000059D4: 923D3D3C
	s_add_u32 s82, s82, s61                                    // 0000000059D8: 80523D52
	v_mul_lo_u32 v6, v5, s82                                   // 0000000059DC: D2850006 0000A505
	v_readlane_b32 s82, v3, 25                                 // 0000000059E4: D2890052 00013303
	s_lshr_b32 s61, s82, 24                                    // 0000000059EC: 8F3D9852
	s_and_b32 s82, s82, 0xffffff                               // 0000000059F0: 8652FF52 00FFFFFF
	s_mul_i32 s82, s82, s71                                    // 0000000059F8: 92524752
	s_mul_i32 s61, s60, s61                                    // 0000000059FC: 923D3D3C
	s_add_u32 s82, s82, s61                                    // 000000005A00: 80523D52
	v_mul_lo_u32 v7, v4, s82                                   // 000000005A04: D2850007 0000A504
	v_add_u32_e32 v68, v6, v7                                  // 000000005A0C: 68880F06
	v_readlane_b32 s82, v3, 26                                 // 000000005A10: D2890052 00013503
	s_lshr_b32 s61, s82, 24                                    // 000000005A18: 8F3D9852
	s_and_b32 s82, s82, 0xffffff                               // 000000005A1C: 8652FF52 00FFFFFF
	s_mul_i32 s82, s82, s71                                    // 000000005A24: 92524752
	s_mul_i32 s61, s60, s61                                    // 000000005A28: 923D3D3C
	s_add_u32 s82, s82, s61                                    // 000000005A2C: 80523D52
	v_mul_lo_u32 v6, v5, s82                                   // 000000005A30: D2850006 0000A505
	v_readlane_b32 s82, v3, 27                                 // 000000005A38: D2890052 00013703
	s_lshr_b32 s61, s82, 24                                    // 000000005A40: 8F3D9852
	s_and_b32 s82, s82, 0xffffff                               // 000000005A44: 8652FF52 00FFFFFF
	s_mul_i32 s82, s82, s71                                    // 000000005A4C: 92524752
	s_mul_i32 s61, s60, s61                                    // 000000005A50: 923D3D3C
	s_add_u32 s82, s82, s61                                    // 000000005A54: 80523D52
	v_mul_lo_u32 v7, v4, s82                                   // 000000005A58: D2850007 0000A504
	v_add_u32_e32 v69, v6, v7                                  // 000000005A60: 688A0F06
	v_and_b32_e32 v4, 31, v0                                   // 000000005A64: 2608009F
	v_lshrrev_b32_e32 v4, 1, v4                                // 000000005A68: 20080881
	s_cmp_eq_u32 s88, 0                                        // 000000005A6C: BF068058
	s_cselect_b32 s61, 2, 4                                    // 000000005A70: 853D8482
	v_mul_lo_u32 v4, v4, s61                                   // 000000005A74: D2850004 00007B04
	v_and_b32_e64 v5, v0, 1                                    // 000000005A7C: D1130005 00010300
	v_add_u32_e32 v4, v4, v5                                   // 000000005A84: 68080B04
	v_lshlrev_b32_e32 v4, 2, v4                                // 000000005A88: 24080882
	v_add_u32_e32 v56, v56, v4                                 // 000000005A8C: 68700938
	v_add_u32_e32 v57, v57, v4                                 // 000000005A90: 68720939
	v_add_u32_e32 v58, v58, v4                                 // 000000005A94: 6874093A
	v_add_u32_e32 v59, v59, v4                                 // 000000005A98: 6876093B
	v_add_u32_e32 v60, v60, v4                                 // 000000005A9C: 6878093C
	v_add_u32_e32 v61, v61, v4                                 // 000000005AA0: 687A093D
	v_add_u32_e32 v62, v62, v4                                 // 000000005AA4: 687C093E
	v_add_u32_e32 v63, v63, v4                                 // 000000005AA8: 687E093F
	v_add_u32_e32 v64, v64, v4                                 // 000000005AAC: 68800940
	v_add_u32_e32 v65, v65, v4                                 // 000000005AB0: 68820941
	v_add_u32_e32 v66, v66, v4                                 // 000000005AB4: 68840942
	v_add_u32_e32 v67, v67, v4                                 // 000000005AB8: 68860943
	v_add_u32_e32 v68, v68, v4                                 // 000000005ABC: 68880944
	v_add_u32_e32 v69, v69, v4                                 // 000000005AC0: 688A0945
	s_waitcnt lgkmcnt(0)                                       // 000000005AC4: BF8CC07F
	s_barrier                                                  // 000000005AC8: BF8A0000
	ds_read_b32 v72, v21                                       // 000000005ACC: D86C0000 48000015
	ds_read_b32 v73, v21 offset:64                             // 000000005AD4: D86C0040 49000015
	ds_read_b32 v76, v21 offset:2176                           // 000000005ADC: D86C0880 4C000015
	ds_read_b32 v77, v21 offset:2240                           // 000000005AE4: D86C08C0 4D000015
	ds_read_b32 v80, v21 offset:4352                           // 000000005AEC: D86C1100 50000015
	ds_read_b32 v81, v21 offset:4416                           // 000000005AF4: D86C1140 51000015
	ds_read_b32 v84, v21 offset:6528                           // 000000005AFC: D86C1980 54000015
	ds_read_b32 v85, v21 offset:6592                           // 000000005B04: D86C19C0 55000015
	ds_read_b32 v88, v21 offset:8704                           // 000000005B0C: D86C2200 58000015
	ds_read_b32 v89, v21 offset:8768                           // 000000005B14: D86C2240 59000015
	ds_read_b32 v92, v21 offset:10880                          // 000000005B1C: D86C2A80 5C000015
	ds_read_b32 v93, v21 offset:10944                          // 000000005B24: D86C2AC0 5D000015
	ds_read_b32 v96, v21 offset:13056                          // 000000005B2C: D86C3300 60000015
	ds_read_b32 v97, v21 offset:13120                          // 000000005B34: D86C3340 61000015
	s_waitcnt lgkmcnt(0)                                       // 000000005B3C: BF8CC07F
	s_mov_b32 s36, -1                                          // 000000005B40: BEA400C1
	s_mov_b32 s37, -1                                          // 000000005B44: BEA500C1
	v_mov_b32_e32 v7, 0                                        // 000000005B48: 7E0E0280
	s_mov_b64 exec, s[36:37]                                   // 000000005B4C: BEFE0124
	v_mov_b32_e32 v6, v56                                      // 000000005B50: 7E0C0338
	s_mov_b64 s[60:61], 0                                      // 000000005B54: BEBC0180
	v_readlane_b32 s82, v3, 0                                  // 000000005B58: D2890052 00010103
	s_and_b32 s82, s82, 0xffffff                               // 000000005B60: 8652FF52 00FFFFFF
	s_cmp_lt_u32 s82, s66                                      // 000000005B68: BF0A4252
	s_cselect_b32 s20, s36, s60                                // 000000005B6C: 85143C24
	v_readlane_b32 s82, v3, 1                                  // 000000005B70: D2890052 00010303
	s_and_b32 s82, s82, 0xffffff                               // 000000005B78: 8652FF52 00FFFFFF
	s_cmp_lt_u32 s82, s66                                      // 000000005B80: BF0A4252
	s_cselect_b32 s21, s36, s60                                // 000000005B84: 85153C24
	s_mov_b64 exec, s[20:21]                                   // 000000005B88: BEFE0114
	global_atomic_add_f32 v6, v72, s[8:9]                      // 000000005B8C: DD348000 00084806
	s_mov_b64 exec, s[36:37]                                   // 000000005B94: BEFE0124
	v_mov_b32_e32 v6, v57                                      // 000000005B98: 7E0C0339
	s_mov_b64 s[60:61], 0                                      // 000000005B9C: BEBC0180
	v_readlane_b32 s82, v3, 2                                  // 000000005BA0: D2890052 00010503
	s_and_b32 s82, s82, 0xffffff                               // 000000005BA8: 8652FF52 00FFFFFF
	s_cmp_lt_u32 s82, s66                                      // 000000005BB0: BF0A4252
	s_cselect_b32 s20, s36, s60                                // 000000005BB4: 85143C24
	v_readlane_b32 s82, v3, 3                                  // 000000005BB8: D2890052 00010703
	s_and_b32 s82, s82, 0xffffff                               // 000000005BC0: 8652FF52 00FFFFFF
	s_cmp_lt_u32 s82, s66                                      // 000000005BC8: BF0A4252
	s_cselect_b32 s21, s36, s60                                // 000000005BCC: 85153C24
	s_mov_b64 exec, s[20:21]                                   // 000000005BD0: BEFE0114
	global_atomic_add_f32 v6, v73, s[8:9]                      // 000000005BD4: DD348000 00084906
	s_mov_b64 exec, s[36:37]                                   // 000000005BDC: BEFE0124
	v_mov_b32_e32 v6, v58                                      // 000000005BE0: 7E0C033A
	s_mov_b64 s[60:61], 0                                      // 000000005BE4: BEBC0180
	v_readlane_b32 s82, v3, 4                                  // 000000005BE8: D2890052 00010903
	s_and_b32 s82, s82, 0xffffff                               // 000000005BF0: 8652FF52 00FFFFFF
	s_cmp_lt_u32 s82, s66                                      // 000000005BF8: BF0A4252
	s_cselect_b32 s20, s36, s60                                // 000000005BFC: 85143C24
	v_readlane_b32 s82, v3, 5                                  // 000000005C00: D2890052 00010B03
	s_and_b32 s82, s82, 0xffffff                               // 000000005C08: 8652FF52 00FFFFFF
	s_cmp_lt_u32 s82, s66                                      // 000000005C10: BF0A4252
	s_cselect_b32 s21, s36, s60                                // 000000005C14: 85153C24
	s_mov_b64 exec, s[20:21]                                   // 000000005C18: BEFE0114
	global_atomic_add_f32 v6, v76, s[8:9]                      // 000000005C1C: DD348000 00084C06
	s_mov_b64 exec, s[36:37]                                   // 000000005C24: BEFE0124
	v_mov_b32_e32 v6, v59                                      // 000000005C28: 7E0C033B
	s_mov_b64 s[60:61], 0                                      // 000000005C2C: BEBC0180
	v_readlane_b32 s82, v3, 6                                  // 000000005C30: D2890052 00010D03
	s_and_b32 s82, s82, 0xffffff                               // 000000005C38: 8652FF52 00FFFFFF
	s_cmp_lt_u32 s82, s66                                      // 000000005C40: BF0A4252
	s_cselect_b32 s20, s36, s60                                // 000000005C44: 85143C24
	v_readlane_b32 s82, v3, 7                                  // 000000005C48: D2890052 00010F03
	s_and_b32 s82, s82, 0xffffff                               // 000000005C50: 8652FF52 00FFFFFF
	s_cmp_lt_u32 s82, s66                                      // 000000005C58: BF0A4252
	s_cselect_b32 s21, s36, s60                                // 000000005C5C: 85153C24
	s_mov_b64 exec, s[20:21]                                   // 000000005C60: BEFE0114
	global_atomic_add_f32 v6, v77, s[8:9]                      // 000000005C64: DD348000 00084D06
	s_mov_b64 exec, s[36:37]                                   // 000000005C6C: BEFE0124
	v_mov_b32_e32 v6, v60                                      // 000000005C70: 7E0C033C
	s_mov_b64 s[60:61], 0                                      // 000000005C74: BEBC0180
	v_readlane_b32 s82, v3, 8                                  // 000000005C78: D2890052 00011103
	s_and_b32 s82, s82, 0xffffff                               // 000000005C80: 8652FF52 00FFFFFF
	s_cmp_lt_u32 s82, s66                                      // 000000005C88: BF0A4252
	s_cselect_b32 s20, s36, s60                                // 000000005C8C: 85143C24
	v_readlane_b32 s82, v3, 9                                  // 000000005C90: D2890052 00011303
	s_and_b32 s82, s82, 0xffffff                               // 000000005C98: 8652FF52 00FFFFFF
	s_cmp_lt_u32 s82, s66                                      // 000000005CA0: BF0A4252
	s_cselect_b32 s21, s36, s60                                // 000000005CA4: 85153C24
	s_mov_b64 exec, s[20:21]                                   // 000000005CA8: BEFE0114
	global_atomic_add_f32 v6, v80, s[8:9]                      // 000000005CAC: DD348000 00085006
	s_mov_b64 exec, s[36:37]                                   // 000000005CB4: BEFE0124
	v_mov_b32_e32 v6, v61                                      // 000000005CB8: 7E0C033D
	s_mov_b64 s[60:61], 0                                      // 000000005CBC: BEBC0180
	v_readlane_b32 s82, v3, 10                                 // 000000005CC0: D2890052 00011503
	s_and_b32 s82, s82, 0xffffff                               // 000000005CC8: 8652FF52 00FFFFFF
	s_cmp_lt_u32 s82, s66                                      // 000000005CD0: BF0A4252
	s_cselect_b32 s20, s36, s60                                // 000000005CD4: 85143C24
	v_readlane_b32 s82, v3, 11                                 // 000000005CD8: D2890052 00011703
	s_and_b32 s82, s82, 0xffffff                               // 000000005CE0: 8652FF52 00FFFFFF
	s_cmp_lt_u32 s82, s66                                      // 000000005CE8: BF0A4252
	s_cselect_b32 s21, s36, s60                                // 000000005CEC: 85153C24
	s_mov_b64 exec, s[20:21]                                   // 000000005CF0: BEFE0114
	global_atomic_add_f32 v6, v81, s[8:9]                      // 000000005CF4: DD348000 00085106
	s_mov_b64 exec, s[36:37]                                   // 000000005CFC: BEFE0124
	v_mov_b32_e32 v6, v62                                      // 000000005D00: 7E0C033E
	s_mov_b64 s[60:61], 0                                      // 000000005D04: BEBC0180
	v_readlane_b32 s82, v3, 12                                 // 000000005D08: D2890052 00011903
	s_and_b32 s82, s82, 0xffffff                               // 000000005D10: 8652FF52 00FFFFFF
	s_cmp_lt_u32 s82, s66                                      // 000000005D18: BF0A4252
	s_cselect_b32 s20, s36, s60                                // 000000005D1C: 85143C24
	v_readlane_b32 s82, v3, 13                                 // 000000005D20: D2890052 00011B03
	s_and_b32 s82, s82, 0xffffff                               // 000000005D28: 8652FF52 00FFFFFF
	s_cmp_lt_u32 s82, s66                                      // 000000005D30: BF0A4252
	s_cselect_b32 s21, s36, s60                                // 000000005D34: 85153C24
	s_mov_b64 exec, s[20:21]                                   // 000000005D38: BEFE0114
	global_atomic_add_f32 v6, v84, s[8:9]                      // 000000005D3C: DD348000 00085406
	s_mov_b64 exec, s[36:37]                                   // 000000005D44: BEFE0124
	v_mov_b32_e32 v6, v63                                      // 000000005D48: 7E0C033F
	s_mov_b64 s[60:61], 0                                      // 000000005D4C: BEBC0180
	v_readlane_b32 s82, v3, 14                                 // 000000005D50: D2890052 00011D03
	s_and_b32 s82, s82, 0xffffff                               // 000000005D58: 8652FF52 00FFFFFF
	s_cmp_lt_u32 s82, s66                                      // 000000005D60: BF0A4252
	s_cselect_b32 s20, s36, s60                                // 000000005D64: 85143C24
	v_readlane_b32 s82, v3, 15                                 // 000000005D68: D2890052 00011F03
	s_and_b32 s82, s82, 0xffffff                               // 000000005D70: 8652FF52 00FFFFFF
	s_cmp_lt_u32 s82, s66                                      // 000000005D78: BF0A4252
	s_cselect_b32 s21, s36, s60                                // 000000005D7C: 85153C24
	s_mov_b64 exec, s[20:21]                                   // 000000005D80: BEFE0114
	global_atomic_add_f32 v6, v85, s[8:9]                      // 000000005D84: DD348000 00085506
	s_mov_b64 exec, s[36:37]                                   // 000000005D8C: BEFE0124
	v_mov_b32_e32 v6, v64                                      // 000000005D90: 7E0C0340
	s_mov_b64 s[60:61], 0                                      // 000000005D94: BEBC0180
	v_readlane_b32 s82, v3, 16                                 // 000000005D98: D2890052 00012103
	s_and_b32 s82, s82, 0xffffff                               // 000000005DA0: 8652FF52 00FFFFFF
	s_cmp_lt_u32 s82, s66                                      // 000000005DA8: BF0A4252
	s_cselect_b32 s20, s36, s60                                // 000000005DAC: 85143C24
	v_readlane_b32 s82, v3, 17                                 // 000000005DB0: D2890052 00012303
	s_and_b32 s82, s82, 0xffffff                               // 000000005DB8: 8652FF52 00FFFFFF
	s_cmp_lt_u32 s82, s66                                      // 000000005DC0: BF0A4252
	s_cselect_b32 s21, s36, s60                                // 000000005DC4: 85153C24
	s_mov_b64 exec, s[20:21]                                   // 000000005DC8: BEFE0114
	global_atomic_add_f32 v6, v88, s[8:9]                      // 000000005DCC: DD348000 00085806
	s_mov_b64 exec, s[36:37]                                   // 000000005DD4: BEFE0124
	v_mov_b32_e32 v6, v65                                      // 000000005DD8: 7E0C0341
	s_mov_b64 s[60:61], 0                                      // 000000005DDC: BEBC0180
	v_readlane_b32 s82, v3, 18                                 // 000000005DE0: D2890052 00012503
	s_and_b32 s82, s82, 0xffffff                               // 000000005DE8: 8652FF52 00FFFFFF
	s_cmp_lt_u32 s82, s66                                      // 000000005DF0: BF0A4252
	s_cselect_b32 s20, s36, s60                                // 000000005DF4: 85143C24
	v_readlane_b32 s82, v3, 19                                 // 000000005DF8: D2890052 00012703
	s_and_b32 s82, s82, 0xffffff                               // 000000005E00: 8652FF52 00FFFFFF
	s_cmp_lt_u32 s82, s66                                      // 000000005E08: BF0A4252
	s_cselect_b32 s21, s36, s60                                // 000000005E0C: 85153C24
	s_mov_b64 exec, s[20:21]                                   // 000000005E10: BEFE0114
	global_atomic_add_f32 v6, v89, s[8:9]                      // 000000005E14: DD348000 00085906
	s_mov_b64 exec, s[36:37]                                   // 000000005E1C: BEFE0124
	v_mov_b32_e32 v6, v66                                      // 000000005E20: 7E0C0342
	s_mov_b64 s[60:61], 0                                      // 000000005E24: BEBC0180
	v_readlane_b32 s82, v3, 20                                 // 000000005E28: D2890052 00012903
	s_and_b32 s82, s82, 0xffffff                               // 000000005E30: 8652FF52 00FFFFFF
	s_cmp_lt_u32 s82, s66                                      // 000000005E38: BF0A4252
	s_cselect_b32 s20, s36, s60                                // 000000005E3C: 85143C24
	v_readlane_b32 s82, v3, 21                                 // 000000005E40: D2890052 00012B03
	s_and_b32 s82, s82, 0xffffff                               // 000000005E48: 8652FF52 00FFFFFF
	s_cmp_lt_u32 s82, s66                                      // 000000005E50: BF0A4252
	s_cselect_b32 s21, s36, s60                                // 000000005E54: 85153C24
	s_mov_b64 exec, s[20:21]                                   // 000000005E58: BEFE0114
	global_atomic_add_f32 v6, v92, s[8:9]                      // 000000005E5C: DD348000 00085C06
	s_mov_b64 exec, s[36:37]                                   // 000000005E64: BEFE0124
	v_mov_b32_e32 v6, v67                                      // 000000005E68: 7E0C0343
	s_mov_b64 s[60:61], 0                                      // 000000005E6C: BEBC0180
	v_readlane_b32 s82, v3, 22                                 // 000000005E70: D2890052 00012D03
	s_and_b32 s82, s82, 0xffffff                               // 000000005E78: 8652FF52 00FFFFFF
	s_cmp_lt_u32 s82, s66                                      // 000000005E80: BF0A4252
	s_cselect_b32 s20, s36, s60                                // 000000005E84: 85143C24
	v_readlane_b32 s82, v3, 23                                 // 000000005E88: D2890052 00012F03
	s_and_b32 s82, s82, 0xffffff                               // 000000005E90: 8652FF52 00FFFFFF
	s_cmp_lt_u32 s82, s66                                      // 000000005E98: BF0A4252
	s_cselect_b32 s21, s36, s60                                // 000000005E9C: 85153C24
	s_mov_b64 exec, s[20:21]                                   // 000000005EA0: BEFE0114
	global_atomic_add_f32 v6, v93, s[8:9]                      // 000000005EA4: DD348000 00085D06
	s_mov_b64 exec, s[36:37]                                   // 000000005EAC: BEFE0124
	v_mov_b32_e32 v6, v68                                      // 000000005EB0: 7E0C0344
	s_mov_b64 s[60:61], 0                                      // 000000005EB4: BEBC0180
	v_readlane_b32 s82, v3, 24                                 // 000000005EB8: D2890052 00013103
	s_and_b32 s82, s82, 0xffffff                               // 000000005EC0: 8652FF52 00FFFFFF
	s_cmp_lt_u32 s82, s66                                      // 000000005EC8: BF0A4252
	s_cselect_b32 s20, s36, s60                                // 000000005ECC: 85143C24
	v_readlane_b32 s82, v3, 25                                 // 000000005ED0: D2890052 00013303
	s_and_b32 s82, s82, 0xffffff                               // 000000005ED8: 8652FF52 00FFFFFF
	s_cmp_lt_u32 s82, s66                                      // 000000005EE0: BF0A4252
	s_cselect_b32 s21, s36, s60                                // 000000005EE4: 85153C24
	s_mov_b64 exec, s[20:21]                                   // 000000005EE8: BEFE0114
	global_atomic_add_f32 v6, v96, s[8:9]                      // 000000005EEC: DD348000 00086006
	s_mov_b64 exec, s[36:37]                                   // 000000005EF4: BEFE0124
	v_mov_b32_e32 v6, v69                                      // 000000005EF8: 7E0C0345
	s_mov_b64 s[60:61], 0                                      // 000000005EFC: BEBC0180
	v_readlane_b32 s82, v3, 26                                 // 000000005F00: D2890052 00013503
	s_and_b32 s82, s82, 0xffffff                               // 000000005F08: 8652FF52 00FFFFFF
	s_cmp_lt_u32 s82, s66                                      // 000000005F10: BF0A4252
	s_cselect_b32 s20, s36, s60                                // 000000005F14: 85143C24
	v_readlane_b32 s82, v3, 27                                 // 000000005F18: D2890052 00013703
	s_and_b32 s82, s82, 0xffffff                               // 000000005F20: 8652FF52 00FFFFFF
	s_cmp_lt_u32 s82, s66                                      // 000000005F28: BF0A4252
	s_cselect_b32 s21, s36, s60                                // 000000005F2C: 85153C24
	s_mov_b64 exec, s[20:21]                                   // 000000005F30: BEFE0114
	global_atomic_add_f32 v6, v97, s[8:9]                      // 000000005F34: DD348000 00086106
	s_mov_b64 exec, s[36:37]                                   // 000000005F3C: BEFE0124
	ds_write_b64 v20, v[74:75]                                 // 000000005F40: D89A0000 00004A14
	ds_write_b64 v20, v[78:79] offset:2176                     // 000000005F48: D89A0880 00004E14
	ds_write_b64 v20, v[82:83] offset:4352                     // 000000005F50: D89A1100 00005214
	ds_write_b64 v20, v[86:87] offset:6528                     // 000000005F58: D89A1980 00005614
	ds_write_b64 v20, v[90:91] offset:8704                     // 000000005F60: D89A2200 00005A14
	ds_write_b64 v20, v[94:95] offset:10880                    // 000000005F68: D89A2A80 00005E14
	ds_write_b64 v20, v[98:99] offset:13056                    // 000000005F70: D89A3300 00006214
	s_waitcnt lgkmcnt(0)                                       // 000000005F78: BF8CC07F
	s_barrier                                                  // 000000005F7C: BF8A0000
	ds_read_b32 v74, v21                                       // 000000005F80: D86C0000 4A000015
	ds_read_b32 v75, v21 offset:64                             // 000000005F88: D86C0040 4B000015
	ds_read_b32 v78, v21 offset:2176                           // 000000005F90: D86C0880 4E000015
	ds_read_b32 v79, v21 offset:2240                           // 000000005F98: D86C08C0 4F000015
	ds_read_b32 v82, v21 offset:4352                           // 000000005FA0: D86C1100 52000015
	ds_read_b32 v83, v21 offset:4416                           // 000000005FA8: D86C1140 53000015
	ds_read_b32 v86, v21 offset:6528                           // 000000005FB0: D86C1980 56000015
	ds_read_b32 v87, v21 offset:6592                           // 000000005FB8: D86C19C0 57000015
	ds_read_b32 v90, v21 offset:8704                           // 000000005FC0: D86C2200 5A000015
	ds_read_b32 v91, v21 offset:8768                           // 000000005FC8: D86C2240 5B000015
	ds_read_b32 v94, v21 offset:10880                          // 000000005FD0: D86C2A80 5E000015
	ds_read_b32 v95, v21 offset:10944                          // 000000005FD8: D86C2AC0 5F000015
	ds_read_b32 v98, v21 offset:13056                          // 000000005FE0: D86C3300 62000015
	ds_read_b32 v99, v21 offset:13120                          // 000000005FE8: D86C3340 63000015
	s_waitcnt lgkmcnt(0)                                       // 000000005FF0: BF8CC07F
	v_mov_b32_e32 v7, 0                                        // 000000005FF4: 7E0E0280
	s_mov_b64 exec, s[36:37]                                   // 000000005FF8: BEFE0124
	v_mov_b32_e32 v6, v56                                      // 000000005FFC: 7E0C0338
	s_mov_b64 s[60:61], 0                                      // 000000006000: BEBC0180
	v_readlane_b32 s82, v3, 0                                  // 000000006004: D2890052 00010103
	s_and_b32 s82, s82, 0xffffff                               // 00000000600C: 8652FF52 00FFFFFF
	s_cmp_lt_u32 s82, s66                                      // 000000006014: BF0A4252
	s_cselect_b32 s20, s36, s60                                // 000000006018: 85143C24
	v_readlane_b32 s82, v3, 1                                  // 00000000601C: D2890052 00010303
	s_and_b32 s82, s82, 0xffffff                               // 000000006024: 8652FF52 00FFFFFF
	s_cmp_lt_u32 s82, s66                                      // 00000000602C: BF0A4252
	s_cselect_b32 s21, s36, s60                                // 000000006030: 85153C24
	s_mov_b64 exec, s[20:21]                                   // 000000006034: BEFE0114
	global_atomic_add_f32 v6, v74, s[8:9] offset:8             // 000000006038: DD348008 00084A06
	s_mov_b64 exec, s[36:37]                                   // 000000006040: BEFE0124
	v_mov_b32_e32 v6, v57                                      // 000000006044: 7E0C0339
	s_mov_b64 s[60:61], 0                                      // 000000006048: BEBC0180
	v_readlane_b32 s82, v3, 2                                  // 00000000604C: D2890052 00010503
	s_and_b32 s82, s82, 0xffffff                               // 000000006054: 8652FF52 00FFFFFF
	s_cmp_lt_u32 s82, s66                                      // 00000000605C: BF0A4252
	s_cselect_b32 s20, s36, s60                                // 000000006060: 85143C24
	v_readlane_b32 s82, v3, 3                                  // 000000006064: D2890052 00010703
	s_and_b32 s82, s82, 0xffffff                               // 00000000606C: 8652FF52 00FFFFFF
	s_cmp_lt_u32 s82, s66                                      // 000000006074: BF0A4252
	s_cselect_b32 s21, s36, s60                                // 000000006078: 85153C24
	s_mov_b64 exec, s[20:21]                                   // 00000000607C: BEFE0114
	global_atomic_add_f32 v6, v75, s[8:9] offset:8             // 000000006080: DD348008 00084B06
	s_mov_b64 exec, s[36:37]                                   // 000000006088: BEFE0124
	v_mov_b32_e32 v6, v58                                      // 00000000608C: 7E0C033A
	s_mov_b64 s[60:61], 0                                      // 000000006090: BEBC0180
	v_readlane_b32 s82, v3, 4                                  // 000000006094: D2890052 00010903
	s_and_b32 s82, s82, 0xffffff                               // 00000000609C: 8652FF52 00FFFFFF
	s_cmp_lt_u32 s82, s66                                      // 0000000060A4: BF0A4252
	s_cselect_b32 s20, s36, s60                                // 0000000060A8: 85143C24
	v_readlane_b32 s82, v3, 5                                  // 0000000060AC: D2890052 00010B03
	s_and_b32 s82, s82, 0xffffff                               // 0000000060B4: 8652FF52 00FFFFFF
	s_cmp_lt_u32 s82, s66                                      // 0000000060BC: BF0A4252
	s_cselect_b32 s21, s36, s60                                // 0000000060C0: 85153C24
	s_mov_b64 exec, s[20:21]                                   // 0000000060C4: BEFE0114
	global_atomic_add_f32 v6, v78, s[8:9] offset:8             // 0000000060C8: DD348008 00084E06
	s_mov_b64 exec, s[36:37]                                   // 0000000060D0: BEFE0124
	v_mov_b32_e32 v6, v59                                      // 0000000060D4: 7E0C033B
	s_mov_b64 s[60:61], 0                                      // 0000000060D8: BEBC0180
	v_readlane_b32 s82, v3, 6                                  // 0000000060DC: D2890052 00010D03
	s_and_b32 s82, s82, 0xffffff                               // 0000000060E4: 8652FF52 00FFFFFF
	s_cmp_lt_u32 s82, s66                                      // 0000000060EC: BF0A4252
	s_cselect_b32 s20, s36, s60                                // 0000000060F0: 85143C24
	v_readlane_b32 s82, v3, 7                                  // 0000000060F4: D2890052 00010F03
	s_and_b32 s82, s82, 0xffffff                               // 0000000060FC: 8652FF52 00FFFFFF
	s_cmp_lt_u32 s82, s66                                      // 000000006104: BF0A4252
	s_cselect_b32 s21, s36, s60                                // 000000006108: 85153C24
	s_mov_b64 exec, s[20:21]                                   // 00000000610C: BEFE0114
	global_atomic_add_f32 v6, v79, s[8:9] offset:8             // 000000006110: DD348008 00084F06
	s_mov_b64 exec, s[36:37]                                   // 000000006118: BEFE0124
	v_mov_b32_e32 v6, v60                                      // 00000000611C: 7E0C033C
	s_mov_b64 s[60:61], 0                                      // 000000006120: BEBC0180
	v_readlane_b32 s82, v3, 8                                  // 000000006124: D2890052 00011103
	s_and_b32 s82, s82, 0xffffff                               // 00000000612C: 8652FF52 00FFFFFF
	s_cmp_lt_u32 s82, s66                                      // 000000006134: BF0A4252
	s_cselect_b32 s20, s36, s60                                // 000000006138: 85143C24
	v_readlane_b32 s82, v3, 9                                  // 00000000613C: D2890052 00011303
	s_and_b32 s82, s82, 0xffffff                               // 000000006144: 8652FF52 00FFFFFF
	s_cmp_lt_u32 s82, s66                                      // 00000000614C: BF0A4252
	s_cselect_b32 s21, s36, s60                                // 000000006150: 85153C24
	s_mov_b64 exec, s[20:21]                                   // 000000006154: BEFE0114
	global_atomic_add_f32 v6, v82, s[8:9] offset:8             // 000000006158: DD348008 00085206
	s_mov_b64 exec, s[36:37]                                   // 000000006160: BEFE0124
	v_mov_b32_e32 v6, v61                                      // 000000006164: 7E0C033D
	s_mov_b64 s[60:61], 0                                      // 000000006168: BEBC0180
	v_readlane_b32 s82, v3, 10                                 // 00000000616C: D2890052 00011503
	s_and_b32 s82, s82, 0xffffff                               // 000000006174: 8652FF52 00FFFFFF
	s_cmp_lt_u32 s82, s66                                      // 00000000617C: BF0A4252
	s_cselect_b32 s20, s36, s60                                // 000000006180: 85143C24
	v_readlane_b32 s82, v3, 11                                 // 000000006184: D2890052 00011703
	s_and_b32 s82, s82, 0xffffff                               // 00000000618C: 8652FF52 00FFFFFF
	s_cmp_lt_u32 s82, s66                                      // 000000006194: BF0A4252
	s_cselect_b32 s21, s36, s60                                // 000000006198: 85153C24
	s_mov_b64 exec, s[20:21]                                   // 00000000619C: BEFE0114
	global_atomic_add_f32 v6, v83, s[8:9] offset:8             // 0000000061A0: DD348008 00085306
	s_mov_b64 exec, s[36:37]                                   // 0000000061A8: BEFE0124
	v_mov_b32_e32 v6, v62                                      // 0000000061AC: 7E0C033E
	s_mov_b64 s[60:61], 0                                      // 0000000061B0: BEBC0180
	v_readlane_b32 s82, v3, 12                                 // 0000000061B4: D2890052 00011903
	s_and_b32 s82, s82, 0xffffff                               // 0000000061BC: 8652FF52 00FFFFFF
	s_cmp_lt_u32 s82, s66                                      // 0000000061C4: BF0A4252
	s_cselect_b32 s20, s36, s60                                // 0000000061C8: 85143C24
	v_readlane_b32 s82, v3, 13                                 // 0000000061CC: D2890052 00011B03
	s_and_b32 s82, s82, 0xffffff                               // 0000000061D4: 8652FF52 00FFFFFF
	s_cmp_lt_u32 s82, s66                                      // 0000000061DC: BF0A4252
	s_cselect_b32 s21, s36, s60                                // 0000000061E0: 85153C24
	s_mov_b64 exec, s[20:21]                                   // 0000000061E4: BEFE0114
	global_atomic_add_f32 v6, v86, s[8:9] offset:8             // 0000000061E8: DD348008 00085606
	s_mov_b64 exec, s[36:37]                                   // 0000000061F0: BEFE0124
	v_mov_b32_e32 v6, v63                                      // 0000000061F4: 7E0C033F
	s_mov_b64 s[60:61], 0                                      // 0000000061F8: BEBC0180
	v_readlane_b32 s82, v3, 14                                 // 0000000061FC: D2890052 00011D03
	s_and_b32 s82, s82, 0xffffff                               // 000000006204: 8652FF52 00FFFFFF
	s_cmp_lt_u32 s82, s66                                      // 00000000620C: BF0A4252
	s_cselect_b32 s20, s36, s60                                // 000000006210: 85143C24
	v_readlane_b32 s82, v3, 15                                 // 000000006214: D2890052 00011F03
	s_and_b32 s82, s82, 0xffffff                               // 00000000621C: 8652FF52 00FFFFFF
	s_cmp_lt_u32 s82, s66                                      // 000000006224: BF0A4252
	s_cselect_b32 s21, s36, s60                                // 000000006228: 85153C24
	s_mov_b64 exec, s[20:21]                                   // 00000000622C: BEFE0114
	global_atomic_add_f32 v6, v87, s[8:9] offset:8             // 000000006230: DD348008 00085706
	s_mov_b64 exec, s[36:37]                                   // 000000006238: BEFE0124
	v_mov_b32_e32 v6, v64                                      // 00000000623C: 7E0C0340
	s_mov_b64 s[60:61], 0                                      // 000000006240: BEBC0180
	v_readlane_b32 s82, v3, 16                                 // 000000006244: D2890052 00012103
	s_and_b32 s82, s82, 0xffffff                               // 00000000624C: 8652FF52 00FFFFFF
	s_cmp_lt_u32 s82, s66                                      // 000000006254: BF0A4252
	s_cselect_b32 s20, s36, s60                                // 000000006258: 85143C24
	v_readlane_b32 s82, v3, 17                                 // 00000000625C: D2890052 00012303
	s_and_b32 s82, s82, 0xffffff                               // 000000006264: 8652FF52 00FFFFFF
	s_cmp_lt_u32 s82, s66                                      // 00000000626C: BF0A4252
	s_cselect_b32 s21, s36, s60                                // 000000006270: 85153C24
	s_mov_b64 exec, s[20:21]                                   // 000000006274: BEFE0114
	global_atomic_add_f32 v6, v90, s[8:9] offset:8             // 000000006278: DD348008 00085A06
	s_mov_b64 exec, s[36:37]                                   // 000000006280: BEFE0124
	v_mov_b32_e32 v6, v65                                      // 000000006284: 7E0C0341
	s_mov_b64 s[60:61], 0                                      // 000000006288: BEBC0180
	v_readlane_b32 s82, v3, 18                                 // 00000000628C: D2890052 00012503
	s_and_b32 s82, s82, 0xffffff                               // 000000006294: 8652FF52 00FFFFFF
	s_cmp_lt_u32 s82, s66                                      // 00000000629C: BF0A4252
	s_cselect_b32 s20, s36, s60                                // 0000000062A0: 85143C24
	v_readlane_b32 s82, v3, 19                                 // 0000000062A4: D2890052 00012703
	s_and_b32 s82, s82, 0xffffff                               // 0000000062AC: 8652FF52 00FFFFFF
	s_cmp_lt_u32 s82, s66                                      // 0000000062B4: BF0A4252
	s_cselect_b32 s21, s36, s60                                // 0000000062B8: 85153C24
	s_mov_b64 exec, s[20:21]                                   // 0000000062BC: BEFE0114
	global_atomic_add_f32 v6, v91, s[8:9] offset:8             // 0000000062C0: DD348008 00085B06
	s_mov_b64 exec, s[36:37]                                   // 0000000062C8: BEFE0124
	v_mov_b32_e32 v6, v66                                      // 0000000062CC: 7E0C0342
	s_mov_b64 s[60:61], 0                                      // 0000000062D0: BEBC0180
	v_readlane_b32 s82, v3, 20                                 // 0000000062D4: D2890052 00012903
	s_and_b32 s82, s82, 0xffffff                               // 0000000062DC: 8652FF52 00FFFFFF
	s_cmp_lt_u32 s82, s66                                      // 0000000062E4: BF0A4252
	s_cselect_b32 s20, s36, s60                                // 0000000062E8: 85143C24
	v_readlane_b32 s82, v3, 21                                 // 0000000062EC: D2890052 00012B03
	s_and_b32 s82, s82, 0xffffff                               // 0000000062F4: 8652FF52 00FFFFFF
	s_cmp_lt_u32 s82, s66                                      // 0000000062FC: BF0A4252
	s_cselect_b32 s21, s36, s60                                // 000000006300: 85153C24
	s_mov_b64 exec, s[20:21]                                   // 000000006304: BEFE0114
	global_atomic_add_f32 v6, v94, s[8:9] offset:8             // 000000006308: DD348008 00085E06
	s_mov_b64 exec, s[36:37]                                   // 000000006310: BEFE0124
	v_mov_b32_e32 v6, v67                                      // 000000006314: 7E0C0343
	s_mov_b64 s[60:61], 0                                      // 000000006318: BEBC0180
	v_readlane_b32 s82, v3, 22                                 // 00000000631C: D2890052 00012D03
	s_and_b32 s82, s82, 0xffffff                               // 000000006324: 8652FF52 00FFFFFF
	s_cmp_lt_u32 s82, s66                                      // 00000000632C: BF0A4252
	s_cselect_b32 s20, s36, s60                                // 000000006330: 85143C24
	v_readlane_b32 s82, v3, 23                                 // 000000006334: D2890052 00012F03
	s_and_b32 s82, s82, 0xffffff                               // 00000000633C: 8652FF52 00FFFFFF
	s_cmp_lt_u32 s82, s66                                      // 000000006344: BF0A4252
	s_cselect_b32 s21, s36, s60                                // 000000006348: 85153C24
	s_mov_b64 exec, s[20:21]                                   // 00000000634C: BEFE0114
	global_atomic_add_f32 v6, v95, s[8:9] offset:8             // 000000006350: DD348008 00085F06
	s_mov_b64 exec, s[36:37]                                   // 000000006358: BEFE0124
	v_mov_b32_e32 v6, v68                                      // 00000000635C: 7E0C0344
	s_mov_b64 s[60:61], 0                                      // 000000006360: BEBC0180
	v_readlane_b32 s82, v3, 24                                 // 000000006364: D2890052 00013103
	s_and_b32 s82, s82, 0xffffff                               // 00000000636C: 8652FF52 00FFFFFF
	s_cmp_lt_u32 s82, s66                                      // 000000006374: BF0A4252
	s_cselect_b32 s20, s36, s60                                // 000000006378: 85143C24
	v_readlane_b32 s82, v3, 25                                 // 00000000637C: D2890052 00013303
	s_and_b32 s82, s82, 0xffffff                               // 000000006384: 8652FF52 00FFFFFF
	s_cmp_lt_u32 s82, s66                                      // 00000000638C: BF0A4252
	s_cselect_b32 s21, s36, s60                                // 000000006390: 85153C24
	s_mov_b64 exec, s[20:21]                                   // 000000006394: BEFE0114
	global_atomic_add_f32 v6, v98, s[8:9] offset:8             // 000000006398: DD348008 00086206
	s_mov_b64 exec, s[36:37]                                   // 0000000063A0: BEFE0124
	v_mov_b32_e32 v6, v69                                      // 0000000063A4: 7E0C0345
	s_mov_b64 s[60:61], 0                                      // 0000000063A8: BEBC0180
	v_readlane_b32 s82, v3, 26                                 // 0000000063AC: D2890052 00013503
	s_and_b32 s82, s82, 0xffffff                               // 0000000063B4: 8652FF52 00FFFFFF
	s_cmp_lt_u32 s82, s66                                      // 0000000063BC: BF0A4252
	s_cselect_b32 s20, s36, s60                                // 0000000063C0: 85143C24
	v_readlane_b32 s82, v3, 27                                 // 0000000063C4: D2890052 00013703
	s_and_b32 s82, s82, 0xffffff                               // 0000000063CC: 8652FF52 00FFFFFF
	s_cmp_lt_u32 s82, s66                                      // 0000000063D4: BF0A4252
	s_cselect_b32 s21, s36, s60                                // 0000000063D8: 85153C24
	s_mov_b64 exec, s[20:21]                                   // 0000000063DC: BEFE0114
	global_atomic_add_f32 v6, v99, s[8:9] offset:8             // 0000000063E0: DD348008 00086306
	s_mov_b64 exec, s[36:37]                                   // 0000000063E8: BEFE0124
	ds_write_b64 v20, v[100:101]                               // 0000000063EC: D89A0000 00006414
	ds_write_b64 v20, v[104:105] offset:2176                   // 0000000063F4: D89A0880 00006814
	ds_write_b64 v20, v[108:109] offset:4352                   // 0000000063FC: D89A1100 00006C14
	ds_write_b64 v20, v[112:113] offset:6528                   // 000000006404: D89A1980 00007014
	ds_write_b64 v20, v[116:117] offset:8704                   // 00000000640C: D89A2200 00007414
	ds_write_b64 v20, v[120:121] offset:10880                  // 000000006414: D89A2A80 00007814
	ds_write_b64 v20, v[124:125] offset:13056                  // 00000000641C: D89A3300 00007C14
	s_waitcnt lgkmcnt(0)                                       // 000000006424: BF8CC07F
	s_barrier                                                  // 000000006428: BF8A0000
	ds_read_b32 v100, v21                                      // 00000000642C: D86C0000 64000015
	ds_read_b32 v101, v21 offset:64                            // 000000006434: D86C0040 65000015
	ds_read_b32 v104, v21 offset:2176                          // 00000000643C: D86C0880 68000015
	ds_read_b32 v105, v21 offset:2240                          // 000000006444: D86C08C0 69000015
	ds_read_b32 v108, v21 offset:4352                          // 00000000644C: D86C1100 6C000015
	ds_read_b32 v109, v21 offset:4416                          // 000000006454: D86C1140 6D000015
	ds_read_b32 v112, v21 offset:6528                          // 00000000645C: D86C1980 70000015
	ds_read_b32 v113, v21 offset:6592                          // 000000006464: D86C19C0 71000015
	ds_read_b32 v116, v21 offset:8704                          // 00000000646C: D86C2200 74000015
	ds_read_b32 v117, v21 offset:8768                          // 000000006474: D86C2240 75000015
	ds_read_b32 v120, v21 offset:10880                         // 00000000647C: D86C2A80 78000015
	ds_read_b32 v121, v21 offset:10944                         // 000000006484: D86C2AC0 79000015
	ds_read_b32 v124, v21 offset:13056                         // 00000000648C: D86C3300 7C000015
	ds_read_b32 v125, v21 offset:13120                         // 000000006494: D86C3340 7D000015
	s_mul_i32 s60, s65, 4                                      // 00000000649C: 923C8441
	s_add_u32 s8, s60, s8                                      // 0000000064A0: 8008083C
	s_addc_u32 s9, 0, s9                                       // 0000000064A4: 82090980
	s_waitcnt lgkmcnt(0)                                       // 0000000064A8: BF8CC07F
	v_mov_b32_e32 v7, 0                                        // 0000000064AC: 7E0E0280
	s_mov_b64 exec, s[36:37]                                   // 0000000064B0: BEFE0124
	v_mov_b32_e32 v6, v56                                      // 0000000064B4: 7E0C0338
	s_mov_b64 s[60:61], 0                                      // 0000000064B8: BEBC0180
	v_readlane_b32 s82, v3, 0                                  // 0000000064BC: D2890052 00010103
	s_and_b32 s82, s82, 0xffffff                               // 0000000064C4: 8652FF52 00FFFFFF
	s_cmp_lt_u32 s82, s66                                      // 0000000064CC: BF0A4252
	s_cselect_b32 s20, s36, s60                                // 0000000064D0: 85143C24
	v_readlane_b32 s82, v3, 1                                  // 0000000064D4: D2890052 00010303
	s_and_b32 s82, s82, 0xffffff                               // 0000000064DC: 8652FF52 00FFFFFF
	s_cmp_lt_u32 s82, s66                                      // 0000000064E4: BF0A4252
	s_cselect_b32 s21, s36, s60                                // 0000000064E8: 85153C24
	s_mov_b64 exec, s[20:21]                                   // 0000000064EC: BEFE0114
	global_atomic_add_f32 v6, v100, s[8:9]                     // 0000000064F0: DD348000 00086406
	s_mov_b64 exec, s[36:37]                                   // 0000000064F8: BEFE0124
	v_mov_b32_e32 v6, v57                                      // 0000000064FC: 7E0C0339
	s_mov_b64 s[60:61], 0                                      // 000000006500: BEBC0180
	v_readlane_b32 s82, v3, 2                                  // 000000006504: D2890052 00010503
	s_and_b32 s82, s82, 0xffffff                               // 00000000650C: 8652FF52 00FFFFFF
	s_cmp_lt_u32 s82, s66                                      // 000000006514: BF0A4252
	s_cselect_b32 s20, s36, s60                                // 000000006518: 85143C24
	v_readlane_b32 s82, v3, 3                                  // 00000000651C: D2890052 00010703
	s_and_b32 s82, s82, 0xffffff                               // 000000006524: 8652FF52 00FFFFFF
	s_cmp_lt_u32 s82, s66                                      // 00000000652C: BF0A4252
	s_cselect_b32 s21, s36, s60                                // 000000006530: 85153C24
	s_mov_b64 exec, s[20:21]                                   // 000000006534: BEFE0114
	global_atomic_add_f32 v6, v101, s[8:9]                     // 000000006538: DD348000 00086506
	s_mov_b64 exec, s[36:37]                                   // 000000006540: BEFE0124
	v_mov_b32_e32 v6, v58                                      // 000000006544: 7E0C033A
	s_mov_b64 s[60:61], 0                                      // 000000006548: BEBC0180
	v_readlane_b32 s82, v3, 4                                  // 00000000654C: D2890052 00010903
	s_and_b32 s82, s82, 0xffffff                               // 000000006554: 8652FF52 00FFFFFF
	s_cmp_lt_u32 s82, s66                                      // 00000000655C: BF0A4252
	s_cselect_b32 s20, s36, s60                                // 000000006560: 85143C24
	v_readlane_b32 s82, v3, 5                                  // 000000006564: D2890052 00010B03
	s_and_b32 s82, s82, 0xffffff                               // 00000000656C: 8652FF52 00FFFFFF
	s_cmp_lt_u32 s82, s66                                      // 000000006574: BF0A4252
	s_cselect_b32 s21, s36, s60                                // 000000006578: 85153C24
	s_mov_b64 exec, s[20:21]                                   // 00000000657C: BEFE0114
	global_atomic_add_f32 v6, v104, s[8:9]                     // 000000006580: DD348000 00086806
	s_mov_b64 exec, s[36:37]                                   // 000000006588: BEFE0124
	v_mov_b32_e32 v6, v59                                      // 00000000658C: 7E0C033B
	s_mov_b64 s[60:61], 0                                      // 000000006590: BEBC0180
	v_readlane_b32 s82, v3, 6                                  // 000000006594: D2890052 00010D03
	s_and_b32 s82, s82, 0xffffff                               // 00000000659C: 8652FF52 00FFFFFF
	s_cmp_lt_u32 s82, s66                                      // 0000000065A4: BF0A4252
	s_cselect_b32 s20, s36, s60                                // 0000000065A8: 85143C24
	v_readlane_b32 s82, v3, 7                                  // 0000000065AC: D2890052 00010F03
	s_and_b32 s82, s82, 0xffffff                               // 0000000065B4: 8652FF52 00FFFFFF
	s_cmp_lt_u32 s82, s66                                      // 0000000065BC: BF0A4252
	s_cselect_b32 s21, s36, s60                                // 0000000065C0: 85153C24
	s_mov_b64 exec, s[20:21]                                   // 0000000065C4: BEFE0114
	global_atomic_add_f32 v6, v105, s[8:9]                     // 0000000065C8: DD348000 00086906
	s_mov_b64 exec, s[36:37]                                   // 0000000065D0: BEFE0124
	v_mov_b32_e32 v6, v60                                      // 0000000065D4: 7E0C033C
	s_mov_b64 s[60:61], 0                                      // 0000000065D8: BEBC0180
	v_readlane_b32 s82, v3, 8                                  // 0000000065DC: D2890052 00011103
	s_and_b32 s82, s82, 0xffffff                               // 0000000065E4: 8652FF52 00FFFFFF
	s_cmp_lt_u32 s82, s66                                      // 0000000065EC: BF0A4252
	s_cselect_b32 s20, s36, s60                                // 0000000065F0: 85143C24
	v_readlane_b32 s82, v3, 9                                  // 0000000065F4: D2890052 00011303
	s_and_b32 s82, s82, 0xffffff                               // 0000000065FC: 8652FF52 00FFFFFF
	s_cmp_lt_u32 s82, s66                                      // 000000006604: BF0A4252
	s_cselect_b32 s21, s36, s60                                // 000000006608: 85153C24
	s_mov_b64 exec, s[20:21]                                   // 00000000660C: BEFE0114
	global_atomic_add_f32 v6, v108, s[8:9]                     // 000000006610: DD348000 00086C06
	s_mov_b64 exec, s[36:37]                                   // 000000006618: BEFE0124
	v_mov_b32_e32 v6, v61                                      // 00000000661C: 7E0C033D
	s_mov_b64 s[60:61], 0                                      // 000000006620: BEBC0180
	v_readlane_b32 s82, v3, 10                                 // 000000006624: D2890052 00011503
	s_and_b32 s82, s82, 0xffffff                               // 00000000662C: 8652FF52 00FFFFFF
	s_cmp_lt_u32 s82, s66                                      // 000000006634: BF0A4252
	s_cselect_b32 s20, s36, s60                                // 000000006638: 85143C24
	v_readlane_b32 s82, v3, 11                                 // 00000000663C: D2890052 00011703
	s_and_b32 s82, s82, 0xffffff                               // 000000006644: 8652FF52 00FFFFFF
	s_cmp_lt_u32 s82, s66                                      // 00000000664C: BF0A4252
	s_cselect_b32 s21, s36, s60                                // 000000006650: 85153C24
	s_mov_b64 exec, s[20:21]                                   // 000000006654: BEFE0114
	global_atomic_add_f32 v6, v109, s[8:9]                     // 000000006658: DD348000 00086D06
	s_mov_b64 exec, s[36:37]                                   // 000000006660: BEFE0124
	v_mov_b32_e32 v6, v62                                      // 000000006664: 7E0C033E
	s_mov_b64 s[60:61], 0                                      // 000000006668: BEBC0180
	v_readlane_b32 s82, v3, 12                                 // 00000000666C: D2890052 00011903
	s_and_b32 s82, s82, 0xffffff                               // 000000006674: 8652FF52 00FFFFFF
	s_cmp_lt_u32 s82, s66                                      // 00000000667C: BF0A4252
	s_cselect_b32 s20, s36, s60                                // 000000006680: 85143C24
	v_readlane_b32 s82, v3, 13                                 // 000000006684: D2890052 00011B03
	s_and_b32 s82, s82, 0xffffff                               // 00000000668C: 8652FF52 00FFFFFF
	s_cmp_lt_u32 s82, s66                                      // 000000006694: BF0A4252
	s_cselect_b32 s21, s36, s60                                // 000000006698: 85153C24
	s_mov_b64 exec, s[20:21]                                   // 00000000669C: BEFE0114
	global_atomic_add_f32 v6, v112, s[8:9]                     // 0000000066A0: DD348000 00087006
	s_mov_b64 exec, s[36:37]                                   // 0000000066A8: BEFE0124
	v_mov_b32_e32 v6, v63                                      // 0000000066AC: 7E0C033F
	s_mov_b64 s[60:61], 0                                      // 0000000066B0: BEBC0180
	v_readlane_b32 s82, v3, 14                                 // 0000000066B4: D2890052 00011D03
	s_and_b32 s82, s82, 0xffffff                               // 0000000066BC: 8652FF52 00FFFFFF
	s_cmp_lt_u32 s82, s66                                      // 0000000066C4: BF0A4252
	s_cselect_b32 s20, s36, s60                                // 0000000066C8: 85143C24
	v_readlane_b32 s82, v3, 15                                 // 0000000066CC: D2890052 00011F03
	s_and_b32 s82, s82, 0xffffff                               // 0000000066D4: 8652FF52 00FFFFFF
	s_cmp_lt_u32 s82, s66                                      // 0000000066DC: BF0A4252
	s_cselect_b32 s21, s36, s60                                // 0000000066E0: 85153C24
	s_mov_b64 exec, s[20:21]                                   // 0000000066E4: BEFE0114
	global_atomic_add_f32 v6, v113, s[8:9]                     // 0000000066E8: DD348000 00087106
	s_mov_b64 exec, s[36:37]                                   // 0000000066F0: BEFE0124
	v_mov_b32_e32 v6, v64                                      // 0000000066F4: 7E0C0340
	s_mov_b64 s[60:61], 0                                      // 0000000066F8: BEBC0180
	v_readlane_b32 s82, v3, 16                                 // 0000000066FC: D2890052 00012103
	s_and_b32 s82, s82, 0xffffff                               // 000000006704: 8652FF52 00FFFFFF
	s_cmp_lt_u32 s82, s66                                      // 00000000670C: BF0A4252
	s_cselect_b32 s20, s36, s60                                // 000000006710: 85143C24
	v_readlane_b32 s82, v3, 17                                 // 000000006714: D2890052 00012303
	s_and_b32 s82, s82, 0xffffff                               // 00000000671C: 8652FF52 00FFFFFF
	s_cmp_lt_u32 s82, s66                                      // 000000006724: BF0A4252
	s_cselect_b32 s21, s36, s60                                // 000000006728: 85153C24
	s_mov_b64 exec, s[20:21]                                   // 00000000672C: BEFE0114
	global_atomic_add_f32 v6, v116, s[8:9]                     // 000000006730: DD348000 00087406
	s_mov_b64 exec, s[36:37]                                   // 000000006738: BEFE0124
	v_mov_b32_e32 v6, v65                                      // 00000000673C: 7E0C0341
	s_mov_b64 s[60:61], 0                                      // 000000006740: BEBC0180
	v_readlane_b32 s82, v3, 18                                 // 000000006744: D2890052 00012503
	s_and_b32 s82, s82, 0xffffff                               // 00000000674C: 8652FF52 00FFFFFF
	s_cmp_lt_u32 s82, s66                                      // 000000006754: BF0A4252
	s_cselect_b32 s20, s36, s60                                // 000000006758: 85143C24
	v_readlane_b32 s82, v3, 19                                 // 00000000675C: D2890052 00012703
	s_and_b32 s82, s82, 0xffffff                               // 000000006764: 8652FF52 00FFFFFF
	s_cmp_lt_u32 s82, s66                                      // 00000000676C: BF0A4252
	s_cselect_b32 s21, s36, s60                                // 000000006770: 85153C24
	s_mov_b64 exec, s[20:21]                                   // 000000006774: BEFE0114
	global_atomic_add_f32 v6, v117, s[8:9]                     // 000000006778: DD348000 00087506
	s_mov_b64 exec, s[36:37]                                   // 000000006780: BEFE0124
	v_mov_b32_e32 v6, v66                                      // 000000006784: 7E0C0342
	s_mov_b64 s[60:61], 0                                      // 000000006788: BEBC0180
	v_readlane_b32 s82, v3, 20                                 // 00000000678C: D2890052 00012903
	s_and_b32 s82, s82, 0xffffff                               // 000000006794: 8652FF52 00FFFFFF
	s_cmp_lt_u32 s82, s66                                      // 00000000679C: BF0A4252
	s_cselect_b32 s20, s36, s60                                // 0000000067A0: 85143C24
	v_readlane_b32 s82, v3, 21                                 // 0000000067A4: D2890052 00012B03
	s_and_b32 s82, s82, 0xffffff                               // 0000000067AC: 8652FF52 00FFFFFF
	s_cmp_lt_u32 s82, s66                                      // 0000000067B4: BF0A4252
	s_cselect_b32 s21, s36, s60                                // 0000000067B8: 85153C24
	s_mov_b64 exec, s[20:21]                                   // 0000000067BC: BEFE0114
	global_atomic_add_f32 v6, v120, s[8:9]                     // 0000000067C0: DD348000 00087806
	s_mov_b64 exec, s[36:37]                                   // 0000000067C8: BEFE0124
	v_mov_b32_e32 v6, v67                                      // 0000000067CC: 7E0C0343
	s_mov_b64 s[60:61], 0                                      // 0000000067D0: BEBC0180
	v_readlane_b32 s82, v3, 22                                 // 0000000067D4: D2890052 00012D03
	s_and_b32 s82, s82, 0xffffff                               // 0000000067DC: 8652FF52 00FFFFFF
	s_cmp_lt_u32 s82, s66                                      // 0000000067E4: BF0A4252
	s_cselect_b32 s20, s36, s60                                // 0000000067E8: 85143C24
	v_readlane_b32 s82, v3, 23                                 // 0000000067EC: D2890052 00012F03
	s_and_b32 s82, s82, 0xffffff                               // 0000000067F4: 8652FF52 00FFFFFF
	s_cmp_lt_u32 s82, s66                                      // 0000000067FC: BF0A4252
	s_cselect_b32 s21, s36, s60                                // 000000006800: 85153C24
	s_mov_b64 exec, s[20:21]                                   // 000000006804: BEFE0114
	global_atomic_add_f32 v6, v121, s[8:9]                     // 000000006808: DD348000 00087906
	s_mov_b64 exec, s[36:37]                                   // 000000006810: BEFE0124
	v_mov_b32_e32 v6, v68                                      // 000000006814: 7E0C0344
	s_mov_b64 s[60:61], 0                                      // 000000006818: BEBC0180
	v_readlane_b32 s82, v3, 24                                 // 00000000681C: D2890052 00013103
	s_and_b32 s82, s82, 0xffffff                               // 000000006824: 8652FF52 00FFFFFF
	s_cmp_lt_u32 s82, s66                                      // 00000000682C: BF0A4252
	s_cselect_b32 s20, s36, s60                                // 000000006830: 85143C24
	v_readlane_b32 s82, v3, 25                                 // 000000006834: D2890052 00013303
	s_and_b32 s82, s82, 0xffffff                               // 00000000683C: 8652FF52 00FFFFFF
	s_cmp_lt_u32 s82, s66                                      // 000000006844: BF0A4252
	s_cselect_b32 s21, s36, s60                                // 000000006848: 85153C24
	s_mov_b64 exec, s[20:21]                                   // 00000000684C: BEFE0114
	global_atomic_add_f32 v6, v124, s[8:9]                     // 000000006850: DD348000 00087C06
	s_mov_b64 exec, s[36:37]                                   // 000000006858: BEFE0124
	v_mov_b32_e32 v6, v69                                      // 00000000685C: 7E0C0345
	s_mov_b64 s[60:61], 0                                      // 000000006860: BEBC0180
	v_readlane_b32 s82, v3, 26                                 // 000000006864: D2890052 00013503
	s_and_b32 s82, s82, 0xffffff                               // 00000000686C: 8652FF52 00FFFFFF
	s_cmp_lt_u32 s82, s66                                      // 000000006874: BF0A4252
	s_cselect_b32 s20, s36, s60                                // 000000006878: 85143C24
	v_readlane_b32 s82, v3, 27                                 // 00000000687C: D2890052 00013703
	s_and_b32 s82, s82, 0xffffff                               // 000000006884: 8652FF52 00FFFFFF
	s_cmp_lt_u32 s82, s66                                      // 00000000688C: BF0A4252
	s_cselect_b32 s21, s36, s60                                // 000000006890: 85153C24
	s_mov_b64 exec, s[20:21]                                   // 000000006894: BEFE0114
	global_atomic_add_f32 v6, v125, s[8:9]                     // 000000006898: DD348000 00087D06
	s_mov_b64 exec, s[36:37]                                   // 0000000068A0: BEFE0124
	ds_write_b64 v20, v[102:103]                               // 0000000068A4: D89A0000 00006614
	ds_write_b64 v20, v[106:107] offset:2176                   // 0000000068AC: D89A0880 00006A14
	ds_write_b64 v20, v[110:111] offset:4352                   // 0000000068B4: D89A1100 00006E14
	ds_write_b64 v20, v[114:115] offset:6528                   // 0000000068BC: D89A1980 00007214
	ds_write_b64 v20, v[118:119] offset:8704                   // 0000000068C4: D89A2200 00007614
	ds_write_b64 v20, v[122:123] offset:10880                  // 0000000068CC: D89A2A80 00007A14
	ds_write_b64 v20, v[126:127] offset:13056                  // 0000000068D4: D89A3300 00007E14
	s_waitcnt lgkmcnt(0)                                       // 0000000068DC: BF8CC07F
	s_barrier                                                  // 0000000068E0: BF8A0000
	ds_read_b32 v102, v21                                      // 0000000068E4: D86C0000 66000015
	ds_read_b32 v103, v21 offset:64                            // 0000000068EC: D86C0040 67000015
	ds_read_b32 v106, v21 offset:2176                          // 0000000068F4: D86C0880 6A000015
	ds_read_b32 v107, v21 offset:2240                          // 0000000068FC: D86C08C0 6B000015
	ds_read_b32 v110, v21 offset:4352                          // 000000006904: D86C1100 6E000015
	ds_read_b32 v111, v21 offset:4416                          // 00000000690C: D86C1140 6F000015
	ds_read_b32 v114, v21 offset:6528                          // 000000006914: D86C1980 72000015
	ds_read_b32 v115, v21 offset:6592                          // 00000000691C: D86C19C0 73000015
	ds_read_b32 v118, v21 offset:8704                          // 000000006924: D86C2200 76000015
	ds_read_b32 v119, v21 offset:8768                          // 00000000692C: D86C2240 77000015
	ds_read_b32 v122, v21 offset:10880                         // 000000006934: D86C2A80 7A000015
	ds_read_b32 v123, v21 offset:10944                         // 00000000693C: D86C2AC0 7B000015
	ds_read_b32 v126, v21 offset:13056                         // 000000006944: D86C3300 7E000015
	ds_read_b32 v127, v21 offset:13120                         // 00000000694C: D86C3340 7F000015
	s_waitcnt lgkmcnt(0)                                       // 000000006954: BF8CC07F
	v_mov_b32_e32 v7, 0                                        // 000000006958: 7E0E0280
	s_mov_b64 exec, s[36:37]                                   // 00000000695C: BEFE0124
	v_mov_b32_e32 v6, v56                                      // 000000006960: 7E0C0338
	s_mov_b64 s[60:61], 0                                      // 000000006964: BEBC0180
	v_readlane_b32 s82, v3, 0                                  // 000000006968: D2890052 00010103
	s_and_b32 s82, s82, 0xffffff                               // 000000006970: 8652FF52 00FFFFFF
	s_cmp_lt_u32 s82, s66                                      // 000000006978: BF0A4252
	s_cselect_b32 s20, s36, s60                                // 00000000697C: 85143C24
	v_readlane_b32 s82, v3, 1                                  // 000000006980: D2890052 00010303
	s_and_b32 s82, s82, 0xffffff                               // 000000006988: 8652FF52 00FFFFFF
	s_cmp_lt_u32 s82, s66                                      // 000000006990: BF0A4252
	s_cselect_b32 s21, s36, s60                                // 000000006994: 85153C24
	s_mov_b64 exec, s[20:21]                                   // 000000006998: BEFE0114
	global_atomic_add_f32 v6, v102, s[8:9] offset:8            // 00000000699C: DD348008 00086606
	s_mov_b64 exec, s[36:37]                                   // 0000000069A4: BEFE0124
	v_mov_b32_e32 v6, v57                                      // 0000000069A8: 7E0C0339
	s_mov_b64 s[60:61], 0                                      // 0000000069AC: BEBC0180
	v_readlane_b32 s82, v3, 2                                  // 0000000069B0: D2890052 00010503
	s_and_b32 s82, s82, 0xffffff                               // 0000000069B8: 8652FF52 00FFFFFF
	s_cmp_lt_u32 s82, s66                                      // 0000000069C0: BF0A4252
	s_cselect_b32 s20, s36, s60                                // 0000000069C4: 85143C24
	v_readlane_b32 s82, v3, 3                                  // 0000000069C8: D2890052 00010703
	s_and_b32 s82, s82, 0xffffff                               // 0000000069D0: 8652FF52 00FFFFFF
	s_cmp_lt_u32 s82, s66                                      // 0000000069D8: BF0A4252
	s_cselect_b32 s21, s36, s60                                // 0000000069DC: 85153C24
	s_mov_b64 exec, s[20:21]                                   // 0000000069E0: BEFE0114
	global_atomic_add_f32 v6, v103, s[8:9] offset:8            // 0000000069E4: DD348008 00086706
	s_mov_b64 exec, s[36:37]                                   // 0000000069EC: BEFE0124
	v_mov_b32_e32 v6, v58                                      // 0000000069F0: 7E0C033A
	s_mov_b64 s[60:61], 0                                      // 0000000069F4: BEBC0180
	v_readlane_b32 s82, v3, 4                                  // 0000000069F8: D2890052 00010903
	s_and_b32 s82, s82, 0xffffff                               // 000000006A00: 8652FF52 00FFFFFF
	s_cmp_lt_u32 s82, s66                                      // 000000006A08: BF0A4252
	s_cselect_b32 s20, s36, s60                                // 000000006A0C: 85143C24
	v_readlane_b32 s82, v3, 5                                  // 000000006A10: D2890052 00010B03
	s_and_b32 s82, s82, 0xffffff                               // 000000006A18: 8652FF52 00FFFFFF
	s_cmp_lt_u32 s82, s66                                      // 000000006A20: BF0A4252
	s_cselect_b32 s21, s36, s60                                // 000000006A24: 85153C24
	s_mov_b64 exec, s[20:21]                                   // 000000006A28: BEFE0114
	global_atomic_add_f32 v6, v106, s[8:9] offset:8            // 000000006A2C: DD348008 00086A06
	s_mov_b64 exec, s[36:37]                                   // 000000006A34: BEFE0124
	v_mov_b32_e32 v6, v59                                      // 000000006A38: 7E0C033B
	s_mov_b64 s[60:61], 0                                      // 000000006A3C: BEBC0180
	v_readlane_b32 s82, v3, 6                                  // 000000006A40: D2890052 00010D03
	s_and_b32 s82, s82, 0xffffff                               // 000000006A48: 8652FF52 00FFFFFF
	s_cmp_lt_u32 s82, s66                                      // 000000006A50: BF0A4252
	s_cselect_b32 s20, s36, s60                                // 000000006A54: 85143C24
	v_readlane_b32 s82, v3, 7                                  // 000000006A58: D2890052 00010F03
	s_and_b32 s82, s82, 0xffffff                               // 000000006A60: 8652FF52 00FFFFFF
	s_cmp_lt_u32 s82, s66                                      // 000000006A68: BF0A4252
	s_cselect_b32 s21, s36, s60                                // 000000006A6C: 85153C24
	s_mov_b64 exec, s[20:21]                                   // 000000006A70: BEFE0114
	global_atomic_add_f32 v6, v107, s[8:9] offset:8            // 000000006A74: DD348008 00086B06
	s_mov_b64 exec, s[36:37]                                   // 000000006A7C: BEFE0124
	v_mov_b32_e32 v6, v60                                      // 000000006A80: 7E0C033C
	s_mov_b64 s[60:61], 0                                      // 000000006A84: BEBC0180
	v_readlane_b32 s82, v3, 8                                  // 000000006A88: D2890052 00011103
	s_and_b32 s82, s82, 0xffffff                               // 000000006A90: 8652FF52 00FFFFFF
	s_cmp_lt_u32 s82, s66                                      // 000000006A98: BF0A4252
	s_cselect_b32 s20, s36, s60                                // 000000006A9C: 85143C24
	v_readlane_b32 s82, v3, 9                                  // 000000006AA0: D2890052 00011303
	s_and_b32 s82, s82, 0xffffff                               // 000000006AA8: 8652FF52 00FFFFFF
	s_cmp_lt_u32 s82, s66                                      // 000000006AB0: BF0A4252
	s_cselect_b32 s21, s36, s60                                // 000000006AB4: 85153C24
	s_mov_b64 exec, s[20:21]                                   // 000000006AB8: BEFE0114
	global_atomic_add_f32 v6, v110, s[8:9] offset:8            // 000000006ABC: DD348008 00086E06
	s_mov_b64 exec, s[36:37]                                   // 000000006AC4: BEFE0124
	v_mov_b32_e32 v6, v61                                      // 000000006AC8: 7E0C033D
	s_mov_b64 s[60:61], 0                                      // 000000006ACC: BEBC0180
	v_readlane_b32 s82, v3, 10                                 // 000000006AD0: D2890052 00011503
	s_and_b32 s82, s82, 0xffffff                               // 000000006AD8: 8652FF52 00FFFFFF
	s_cmp_lt_u32 s82, s66                                      // 000000006AE0: BF0A4252
	s_cselect_b32 s20, s36, s60                                // 000000006AE4: 85143C24
	v_readlane_b32 s82, v3, 11                                 // 000000006AE8: D2890052 00011703
	s_and_b32 s82, s82, 0xffffff                               // 000000006AF0: 8652FF52 00FFFFFF
	s_cmp_lt_u32 s82, s66                                      // 000000006AF8: BF0A4252
	s_cselect_b32 s21, s36, s60                                // 000000006AFC: 85153C24
	s_mov_b64 exec, s[20:21]                                   // 000000006B00: BEFE0114
	global_atomic_add_f32 v6, v111, s[8:9] offset:8            // 000000006B04: DD348008 00086F06
	s_mov_b64 exec, s[36:37]                                   // 000000006B0C: BEFE0124
	v_mov_b32_e32 v6, v62                                      // 000000006B10: 7E0C033E
	s_mov_b64 s[60:61], 0                                      // 000000006B14: BEBC0180
	v_readlane_b32 s82, v3, 12                                 // 000000006B18: D2890052 00011903
	s_and_b32 s82, s82, 0xffffff                               // 000000006B20: 8652FF52 00FFFFFF
	s_cmp_lt_u32 s82, s66                                      // 000000006B28: BF0A4252
	s_cselect_b32 s20, s36, s60                                // 000000006B2C: 85143C24
	v_readlane_b32 s82, v3, 13                                 // 000000006B30: D2890052 00011B03
	s_and_b32 s82, s82, 0xffffff                               // 000000006B38: 8652FF52 00FFFFFF
	s_cmp_lt_u32 s82, s66                                      // 000000006B40: BF0A4252
	s_cselect_b32 s21, s36, s60                                // 000000006B44: 85153C24
	s_mov_b64 exec, s[20:21]                                   // 000000006B48: BEFE0114
	global_atomic_add_f32 v6, v114, s[8:9] offset:8            // 000000006B4C: DD348008 00087206
	s_mov_b64 exec, s[36:37]                                   // 000000006B54: BEFE0124
	v_mov_b32_e32 v6, v63                                      // 000000006B58: 7E0C033F
	s_mov_b64 s[60:61], 0                                      // 000000006B5C: BEBC0180
	v_readlane_b32 s82, v3, 14                                 // 000000006B60: D2890052 00011D03
	s_and_b32 s82, s82, 0xffffff                               // 000000006B68: 8652FF52 00FFFFFF
	s_cmp_lt_u32 s82, s66                                      // 000000006B70: BF0A4252
	s_cselect_b32 s20, s36, s60                                // 000000006B74: 85143C24
	v_readlane_b32 s82, v3, 15                                 // 000000006B78: D2890052 00011F03
	s_and_b32 s82, s82, 0xffffff                               // 000000006B80: 8652FF52 00FFFFFF
	s_cmp_lt_u32 s82, s66                                      // 000000006B88: BF0A4252
	s_cselect_b32 s21, s36, s60                                // 000000006B8C: 85153C24
	s_mov_b64 exec, s[20:21]                                   // 000000006B90: BEFE0114
	global_atomic_add_f32 v6, v115, s[8:9] offset:8            // 000000006B94: DD348008 00087306
	s_mov_b64 exec, s[36:37]                                   // 000000006B9C: BEFE0124
	v_mov_b32_e32 v6, v64                                      // 000000006BA0: 7E0C0340
	s_mov_b64 s[60:61], 0                                      // 000000006BA4: BEBC0180
	v_readlane_b32 s82, v3, 16                                 // 000000006BA8: D2890052 00012103
	s_and_b32 s82, s82, 0xffffff                               // 000000006BB0: 8652FF52 00FFFFFF
	s_cmp_lt_u32 s82, s66                                      // 000000006BB8: BF0A4252
	s_cselect_b32 s20, s36, s60                                // 000000006BBC: 85143C24
	v_readlane_b32 s82, v3, 17                                 // 000000006BC0: D2890052 00012303
	s_and_b32 s82, s82, 0xffffff                               // 000000006BC8: 8652FF52 00FFFFFF
	s_cmp_lt_u32 s82, s66                                      // 000000006BD0: BF0A4252
	s_cselect_b32 s21, s36, s60                                // 000000006BD4: 85153C24
	s_mov_b64 exec, s[20:21]                                   // 000000006BD8: BEFE0114
	global_atomic_add_f32 v6, v118, s[8:9] offset:8            // 000000006BDC: DD348008 00087606
	s_mov_b64 exec, s[36:37]                                   // 000000006BE4: BEFE0124
	v_mov_b32_e32 v6, v65                                      // 000000006BE8: 7E0C0341
	s_mov_b64 s[60:61], 0                                      // 000000006BEC: BEBC0180
	v_readlane_b32 s82, v3, 18                                 // 000000006BF0: D2890052 00012503
	s_and_b32 s82, s82, 0xffffff                               // 000000006BF8: 8652FF52 00FFFFFF
	s_cmp_lt_u32 s82, s66                                      // 000000006C00: BF0A4252
	s_cselect_b32 s20, s36, s60                                // 000000006C04: 85143C24
	v_readlane_b32 s82, v3, 19                                 // 000000006C08: D2890052 00012703
	s_and_b32 s82, s82, 0xffffff                               // 000000006C10: 8652FF52 00FFFFFF
	s_cmp_lt_u32 s82, s66                                      // 000000006C18: BF0A4252
	s_cselect_b32 s21, s36, s60                                // 000000006C1C: 85153C24
	s_mov_b64 exec, s[20:21]                                   // 000000006C20: BEFE0114
	global_atomic_add_f32 v6, v119, s[8:9] offset:8            // 000000006C24: DD348008 00087706
	s_mov_b64 exec, s[36:37]                                   // 000000006C2C: BEFE0124
	v_mov_b32_e32 v6, v66                                      // 000000006C30: 7E0C0342
	s_mov_b64 s[60:61], 0                                      // 000000006C34: BEBC0180
	v_readlane_b32 s82, v3, 20                                 // 000000006C38: D2890052 00012903
	s_and_b32 s82, s82, 0xffffff                               // 000000006C40: 8652FF52 00FFFFFF
	s_cmp_lt_u32 s82, s66                                      // 000000006C48: BF0A4252
	s_cselect_b32 s20, s36, s60                                // 000000006C4C: 85143C24
	v_readlane_b32 s82, v3, 21                                 // 000000006C50: D2890052 00012B03
	s_and_b32 s82, s82, 0xffffff                               // 000000006C58: 8652FF52 00FFFFFF
	s_cmp_lt_u32 s82, s66                                      // 000000006C60: BF0A4252
	s_cselect_b32 s21, s36, s60                                // 000000006C64: 85153C24
	s_mov_b64 exec, s[20:21]                                   // 000000006C68: BEFE0114
	global_atomic_add_f32 v6, v122, s[8:9] offset:8            // 000000006C6C: DD348008 00087A06
	s_mov_b64 exec, s[36:37]                                   // 000000006C74: BEFE0124
	v_mov_b32_e32 v6, v67                                      // 000000006C78: 7E0C0343
	s_mov_b64 s[60:61], 0                                      // 000000006C7C: BEBC0180
	v_readlane_b32 s82, v3, 22                                 // 000000006C80: D2890052 00012D03
	s_and_b32 s82, s82, 0xffffff                               // 000000006C88: 8652FF52 00FFFFFF
	s_cmp_lt_u32 s82, s66                                      // 000000006C90: BF0A4252
	s_cselect_b32 s20, s36, s60                                // 000000006C94: 85143C24
	v_readlane_b32 s82, v3, 23                                 // 000000006C98: D2890052 00012F03
	s_and_b32 s82, s82, 0xffffff                               // 000000006CA0: 8652FF52 00FFFFFF
	s_cmp_lt_u32 s82, s66                                      // 000000006CA8: BF0A4252
	s_cselect_b32 s21, s36, s60                                // 000000006CAC: 85153C24
	s_mov_b64 exec, s[20:21]                                   // 000000006CB0: BEFE0114
	global_atomic_add_f32 v6, v123, s[8:9] offset:8            // 000000006CB4: DD348008 00087B06
	s_mov_b64 exec, s[36:37]                                   // 000000006CBC: BEFE0124
	v_mov_b32_e32 v6, v68                                      // 000000006CC0: 7E0C0344
	s_mov_b64 s[60:61], 0                                      // 000000006CC4: BEBC0180
	v_readlane_b32 s82, v3, 24                                 // 000000006CC8: D2890052 00013103
	s_and_b32 s82, s82, 0xffffff                               // 000000006CD0: 8652FF52 00FFFFFF
	s_cmp_lt_u32 s82, s66                                      // 000000006CD8: BF0A4252
	s_cselect_b32 s20, s36, s60                                // 000000006CDC: 85143C24
	v_readlane_b32 s82, v3, 25                                 // 000000006CE0: D2890052 00013303
	s_and_b32 s82, s82, 0xffffff                               // 000000006CE8: 8652FF52 00FFFFFF
	s_cmp_lt_u32 s82, s66                                      // 000000006CF0: BF0A4252
	s_cselect_b32 s21, s36, s60                                // 000000006CF4: 85153C24
	s_mov_b64 exec, s[20:21]                                   // 000000006CF8: BEFE0114
	global_atomic_add_f32 v6, v126, s[8:9] offset:8            // 000000006CFC: DD348008 00087E06
	s_mov_b64 exec, s[36:37]                                   // 000000006D04: BEFE0124
	v_mov_b32_e32 v6, v69                                      // 000000006D08: 7E0C0345
	s_mov_b64 s[60:61], 0                                      // 000000006D0C: BEBC0180
	v_readlane_b32 s82, v3, 26                                 // 000000006D10: D2890052 00013503
	s_and_b32 s82, s82, 0xffffff                               // 000000006D18: 8652FF52 00FFFFFF
	s_cmp_lt_u32 s82, s66                                      // 000000006D20: BF0A4252
	s_cselect_b32 s20, s36, s60                                // 000000006D24: 85143C24
	v_readlane_b32 s82, v3, 27                                 // 000000006D28: D2890052 00013703
	s_and_b32 s82, s82, 0xffffff                               // 000000006D30: 8652FF52 00FFFFFF
	s_cmp_lt_u32 s82, s66                                      // 000000006D38: BF0A4252
	s_cselect_b32 s21, s36, s60                                // 000000006D3C: 85153C24
	s_mov_b64 exec, s[20:21]                                   // 000000006D40: BEFE0114
	global_atomic_add_f32 v6, v127, s[8:9] offset:8            // 000000006D44: DD348008 00087F06
	s_mov_b64 exec, s[36:37]                                   // 000000006D4C: BEFE0124
	s_branch label_1E8B                                        // 000000006D50: BF820DB3

0000000000006d54 <label_10D8>:
	s_waitcnt vmcnt(0) lgkmcnt(0)                              // 000000006D54: BF8C0070
	s_barrier                                                  // 000000006D58: BF8A0000
	v_mfma_f32_16x16x32_fp8_fp8 v[72:75], a[112:113], a[0:1], v[72:75]// 000000006D5C: D3F30048 1D220170
	buffer_load_dwordx4 a[120:123], v70, s[84:87], 0 offen     // 000000006D64: E05C1000 80957846
	v_mfma_f32_16x16x32_fp8_fp8 v[72:75], a[114:115], a[2:3], v[72:75]// 000000006D6C: D3F30048 1D220572
	v_mfma_f32_16x16x32_fp8_fp8 v[72:75], a[116:117], a[4:5], v[72:75]// 000000006D74: D3F30048 1D220974
	v_mfma_f32_16x16x32_fp8_fp8 v[72:75], a[118:119], a[6:7], v[72:75]// 000000006D7C: D3F30048 1D220D76
	v_mfma_f32_16x16x32_fp8_fp8 v[76:79], a[112:113], a[8:9], v[76:79]// 000000006D84: D3F3004C 1D321170
	buffer_load_dwordx4 a[124:127], v70, s[84:87], 0 offen offset:1024// 000000006D8C: E05C1400 80957C46
	buffer_load_dword v56, s[20:23], 0 offen lds               // 000000006D94: E0511000 80050038
	s_add_u32 m0, 0x100, s48                                   // 000000006D9C: 807C30FF 00000100
	v_mfma_f32_16x16x32_fp8_fp8 v[76:79], a[114:115], a[10:11], v[76:79]// 000000006DA4: D3F3004C 1D321572
	v_mfma_f32_16x16x32_fp8_fp8 v[76:79], a[116:117], a[12:13], v[76:79]// 000000006DAC: D3F3004C 1D321974
	buffer_load_dword v57, s[20:23], 0 offen lds               // 000000006DB4: E0511000 80050039
	s_add_u32 m0, 0x200, s48                                   // 000000006DBC: 807C30FF 00000200
	v_mfma_f32_16x16x32_fp8_fp8 v[76:79], a[118:119], a[14:15], v[76:79]// 000000006DC4: D3F3004C 1D321D76
	v_mfma_f32_16x16x32_fp8_fp8 v[80:83], a[112:113], a[16:17], v[80:83]// 000000006DCC: D3F30050 1D422170
	buffer_load_dword v58, s[20:23], 0 offen lds               // 000000006DD4: E0511000 8005003A
	s_add_u32 m0, 0x300, s48                                   // 000000006DDC: 807C30FF 00000300
	v_mfma_f32_16x16x32_fp8_fp8 v[80:83], a[114:115], a[18:19], v[80:83]// 000000006DE4: D3F30050 1D422572
	v_mfma_f32_16x16x32_fp8_fp8 v[80:83], a[116:117], a[20:21], v[80:83]// 000000006DEC: D3F30050 1D422974
	buffer_load_dword v59, s[20:23], 0 offen lds               // 000000006DF4: E0511000 8005003B
	s_add_u32 m0, 0x400, s48                                   // 000000006DFC: 807C30FF 00000400
	v_mfma_f32_16x16x32_fp8_fp8 v[80:83], a[118:119], a[22:23], v[80:83]// 000000006E04: D3F30050 1D422D76
	v_mfma_f32_16x16x32_fp8_fp8 v[84:87], a[112:113], a[24:25], v[84:87]// 000000006E0C: D3F30054 1D523170
	buffer_load_dword v60, s[20:23], 0 offen lds               // 000000006E14: E0511000 8005003C
	s_add_u32 m0, 0x500, s48                                   // 000000006E1C: 807C30FF 00000500
	v_mfma_f32_16x16x32_fp8_fp8 v[84:87], a[114:115], a[26:27], v[84:87]// 000000006E24: D3F30054 1D523572
	v_mfma_f32_16x16x32_fp8_fp8 v[84:87], a[116:117], a[28:29], v[84:87]// 000000006E2C: D3F30054 1D523974
	buffer_load_dword v61, s[20:23], 0 offen lds               // 000000006E34: E0511000 8005003D
	s_add_u32 m0, 0x600, s48                                   // 000000006E3C: 807C30FF 00000600
	v_mfma_f32_16x16x32_fp8_fp8 v[84:87], a[118:119], a[30:31], v[84:87]// 000000006E44: D3F30054 1D523D76
	v_mfma_f32_16x16x32_fp8_fp8 v[88:91], a[112:113], a[32:33], v[88:91]// 000000006E4C: D3F30058 1D624170
	buffer_load_dword v62, s[20:23], 0 offen lds               // 000000006E54: E0511000 8005003E
	s_add_u32 m0, 0x700, s48                                   // 000000006E5C: 807C30FF 00000700
	v_mfma_f32_16x16x32_fp8_fp8 v[88:91], a[114:115], a[34:35], v[88:91]// 000000006E64: D3F30058 1D624572
	v_mfma_f32_16x16x32_fp8_fp8 v[88:91], a[116:117], a[36:37], v[88:91]// 000000006E6C: D3F30058 1D624974
	buffer_load_dword v63, s[20:23], 0 offen lds               // 000000006E74: E0511000 8005003F
	s_add_u32 m0, 0x800, s48                                   // 000000006E7C: 807C30FF 00000800
	v_mfma_f32_16x16x32_fp8_fp8 v[88:91], a[118:119], a[38:39], v[88:91]// 000000006E84: D3F30058 1D624D76
	v_mfma_f32_16x16x32_fp8_fp8 v[92:95], a[112:113], a[40:41], v[92:95]// 000000006E8C: D3F3005C 1D725170
	buffer_load_dword v64, s[20:23], 0 offen lds               // 000000006E94: E0511000 80050040
	s_add_u32 m0, 0x900, s48                                   // 000000006E9C: 807C30FF 00000900
	v_mfma_f32_16x16x32_fp8_fp8 v[92:95], a[114:115], a[42:43], v[92:95]// 000000006EA4: D3F3005C 1D725572
	v_mfma_f32_16x16x32_fp8_fp8 v[92:95], a[116:117], a[44:45], v[92:95]// 000000006EAC: D3F3005C 1D725974
	buffer_load_dword v65, s[20:23], 0 offen lds               // 000000006EB4: E0511000 80050041
	s_add_u32 m0, 0xa00, s48                                   // 000000006EBC: 807C30FF 00000A00
	v_mfma_f32_16x16x32_fp8_fp8 v[92:95], a[118:119], a[46:47], v[92:95]// 000000006EC4: D3F3005C 1D725D76
	v_mfma_f32_16x16x32_fp8_fp8 v[96:99], a[112:113], a[48:49], v[96:99]// 000000006ECC: D3F30060 1D826170
	buffer_load_dword v66, s[20:23], 0 offen lds               // 000000006ED4: E0511000 80050042
	s_add_u32 m0, 0xb00, s48                                   // 000000006EDC: 807C30FF 00000B00
	v_mfma_f32_16x16x32_fp8_fp8 v[96:99], a[114:115], a[50:51], v[96:99]// 000000006EE4: D3F30060 1D826572
	s_add_u32 s60, 0x80, s80                                   // 000000006EEC: 803C50FF 00000080
	s_cmp_lt_u32 s60, s81                                      // 000000006EF4: BF0A513C
	s_cselect_b32 s83, s83, 0                                  // 000000006EF8: 85538053
	v_mfma_f32_16x16x32_fp8_fp8 v[96:99], a[116:117], a[52:53], v[96:99]// 000000006EFC: D3F30060 1D826974
	buffer_load_dword v67, s[20:23], 0 offen lds               // 000000006F04: E0511000 80050043
	s_add_u32 m0, 0xc00, s48                                   // 000000006F0C: 807C30FF 00000C00
	v_mfma_f32_16x16x32_fp8_fp8 v[96:99], a[118:119], a[54:55], v[96:99]// 000000006F14: D3F30060 1D826D76
	buffer_load_dword v68, s[20:23], 0 offen lds               // 000000006F1C: E0511000 80050044
	s_add_u32 m0, 0xd00, s48                                   // 000000006F24: 807C30FF 00000D00
	buffer_load_dword v69, s[20:23], 0 offen lds               // 000000006F2C: E0511000 80050045
	s_add_u32 m0, 0, s49                                       // 000000006F34: 807C3180
	s_waitcnt vmcnt(14)                                        // 000000006F38: BF8C0F7E
	v_mfma_f32_16x16x32_fp8_fp8 v[100:103], a[120:121], a[0:1], v[100:103]// 000000006F3C: D3F30064 1D920178
	buffer_load_dwordx4 a[112:115], v70, s[24:27], 0 offen     // 000000006F44: E05C1000 80867046
	v_mfma_f32_16x16x32_fp8_fp8 v[100:103], a[122:123], a[2:3], v[100:103]// 000000006F4C: D3F30064 1D92057A
	v_mfma_f32_16x16x32_fp8_fp8 v[100:103], a[124:125], a[4:5], v[100:103]// 000000006F54: D3F30064 1D92097C
	ds_read_b128 a[56:59], v2 offset:14464                     // 000000006F5C: DBFE3880 38000002
	ds_read_b128 a[60:63], v2 offset:14528                     // 000000006F64: DBFE38C0 3C000002
	v_mfma_f32_16x16x32_fp8_fp8 v[100:103], a[126:127], a[6:7], v[100:103]// 000000006F6C: D3F30064 1D920D7E
	v_mfma_f32_16x16x32_fp8_fp8 v[104:107], a[120:121], a[8:9], v[104:107]// 000000006F74: D3F30068 1DA21178
	buffer_load_dwordx4 a[116:119], v70, s[24:27], 0 offen offset:1024// 000000006F7C: E05C1400 80867446
	v_mfma_f32_16x16x32_fp8_fp8 v[104:107], a[122:123], a[10:11], v[104:107]// 000000006F84: D3F30068 1DA2157A
	v_mfma_f32_16x16x32_fp8_fp8 v[104:107], a[124:125], a[12:13], v[104:107]// 000000006F8C: D3F30068 1DA2197C
	ds_read_b128 a[64:67], v2 offset:14976                     // 000000006F94: DBFE3A80 40000002
	ds_read_b128 a[68:71], v2 offset:15040                     // 000000006F9C: DBFE3AC0 44000002
	v_mfma_f32_16x16x32_fp8_fp8 v[104:107], a[126:127], a[14:15], v[104:107]// 000000006FA4: D3F30068 1DA21D7E
	v_mfma_f32_16x16x32_fp8_fp8 v[108:111], a[120:121], a[16:17], v[108:111]// 000000006FAC: D3F3006C 1DB22178
	v_mfma_f32_16x16x32_fp8_fp8 v[108:111], a[122:123], a[18:19], v[108:111]// 000000006FB4: D3F3006C 1DB2257A
	v_mfma_f32_16x16x32_fp8_fp8 v[108:111], a[124:125], a[20:21], v[108:111]// 000000006FBC: D3F3006C 1DB2297C
	ds_read_b128 a[72:75], v2 offset:15488                     // 000000006FC4: DBFE3C80 48000002
	ds_read_b128 a[76:79], v2 offset:15552                     // 000000006FCC: DBFE3CC0 4C000002
	v_mfma_f32_16x16x32_fp8_fp8 v[108:111], a[126:127], a[22:23], v[108:111]// 000000006FD4: D3F3006C 1DB22D7E
	v_mfma_f32_16x16x32_fp8_fp8 v[112:115], a[120:121], a[24:25], v[112:115]// 000000006FDC: D3F30070 1DC23178
	v_mfma_f32_16x16x32_fp8_fp8 v[112:115], a[122:123], a[26:27], v[112:115]// 000000006FE4: D3F30070 1DC2357A
	v_mfma_f32_16x16x32_fp8_fp8 v[112:115], a[124:125], a[28:29], v[112:115]// 000000006FEC: D3F30070 1DC2397C
	ds_read_b128 a[80:83], v2 offset:16000                     // 000000006FF4: DBFE3E80 50000002
	ds_read_b128 a[84:87], v2 offset:16064                     // 000000006FFC: DBFE3EC0 54000002
	v_mfma_f32_16x16x32_fp8_fp8 v[112:115], a[126:127], a[30:31], v[112:115]// 000000007004: D3F30070 1DC23D7E
	v_mfma_f32_16x16x32_fp8_fp8 v[116:119], a[120:121], a[32:33], v[116:119]// 00000000700C: D3F30074 1DD24178
	v_mfma_f32_16x16x32_fp8_fp8 v[116:119], a[122:123], a[34:35], v[116:119]// 000000007014: D3F30074 1DD2457A
	v_mfma_f32_16x16x32_fp8_fp8 v[116:119], a[124:125], a[36:37], v[116:119]// 00000000701C: D3F30074 1DD2497C
	ds_read_b128 a[88:91], v2 offset:16512                     // 000000007024: DBFE4080 58000002
	ds_read_b128 a[92:95], v2 offset:16576                     // 00000000702C: DBFE40C0 5C000002
	v_mfma_f32_16x16x32_fp8_fp8 v[116:119], a[126:127], a[38:39], v[116:119]// 000000007034: D3F30074 1DD24D7E
	v_mfma_f32_16x16x32_fp8_fp8 v[120:123], a[120:121], a[40:41], v[120:123]// 00000000703C: D3F30078 1DE25178
	v_mfma_f32_16x16x32_fp8_fp8 v[120:123], a[122:123], a[42:43], v[120:123]// 000000007044: D3F30078 1DE2557A
	v_mfma_f32_16x16x32_fp8_fp8 v[120:123], a[124:125], a[44:45], v[120:123]// 00000000704C: D3F30078 1DE2597C
	ds_read_b128 a[96:99], v2 offset:17024                     // 000000007054: DBFE4280 60000002
	ds_read_b128 a[100:103], v2 offset:17088                   // 00000000705C: DBFE42C0 64000002
	s_add_u32 s60, 0x180, s80                                  // 000000007064: 803C50FF 00000180
	s_cmp_lt_u32 s60, s81                                      // 00000000706C: BF0A513C
	s_cselect_b32 s57, s57, 0                                  // 000000007070: 85398039
	v_mfma_f32_16x16x32_fp8_fp8 v[120:123], a[126:127], a[46:47], v[120:123]// 000000007074: D3F30078 1DE25D7E
	s_add_u32 s60, 0x100, s80                                  // 00000000707C: 803C50FF 00000100
	s_cmp_lt_u32 s60, s81                                      // 000000007084: BF0A513C
	s_cselect_b32 s58, s58, 0                                  // 000000007088: 853A803A
	v_mfma_f32_16x16x32_fp8_fp8 v[124:127], a[120:121], a[48:49], v[124:127]// 00000000708C: D3F3007C 1DF26178
	s_add_u32 s24, s58, s24                                    // 000000007094: 8018183A
	s_addc_u32 s25, 0, s25                                     // 000000007098: 82191980
	v_mfma_f32_16x16x32_fp8_fp8 v[124:127], a[122:123], a[50:51], v[124:127]// 00000000709C: D3F3007C 1DF2657A
	s_add_u32 s20, s57, s20                                    // 0000000070A4: 80141439
	s_addc_u32 s21, 0, s21                                     // 0000000070A8: 82151580
	v_mfma_f32_16x16x32_fp8_fp8 v[124:127], a[124:125], a[52:53], v[124:127]// 0000000070AC: D3F3007C 1DF2697C
	ds_read_b128 a[104:107], v2 offset:17536                   // 0000000070B4: DBFE4480 68000002
	ds_read_b128 a[108:111], v2 offset:17600                   // 0000000070BC: DBFE44C0 6C000002
	s_add_u32 s84, s83, s84                                    // 0000000070C4: 80545453
	s_addc_u32 s85, 0, s85                                     // 0000000070C8: 82555580
	v_mfma_f32_16x16x32_fp8_fp8 v[124:127], a[126:127], a[54:55], v[124:127]// 0000000070CC: D3F3007C 1DF26D7E
	s_addk_i32 s80, 0x80                                       // 0000000070D4: B7500080
	s_cmp_lt_i32 s80, s81                                      // 0000000070D8: BF045150
	s_cbranch_scc0 label_129F                                  // 0000000070DC: BF8400E4
	s_waitcnt vmcnt(0) lgkmcnt(0)                              // 0000000070E0: BF8C0070
	s_barrier                                                  // 0000000070E4: BF8A0000
	v_mfma_f32_16x16x32_fp8_fp8 v[72:75], a[112:113], a[56:57], v[72:75]// 0000000070E8: D3F30048 1D227170
	buffer_load_dwordx4 a[120:123], v70, s[84:87], 0 offen     // 0000000070F0: E05C1000 80957846
	v_mfma_f32_16x16x32_fp8_fp8 v[72:75], a[114:115], a[58:59], v[72:75]// 0000000070F8: D3F30048 1D227572
	v_mfma_f32_16x16x32_fp8_fp8 v[72:75], a[116:117], a[60:61], v[72:75]// 000000007100: D3F30048 1D227974
	v_mfma_f32_16x16x32_fp8_fp8 v[72:75], a[118:119], a[62:63], v[72:75]// 000000007108: D3F30048 1D227D76
	v_mfma_f32_16x16x32_fp8_fp8 v[76:79], a[112:113], a[64:65], v[76:79]// 000000007110: D3F3004C 1D328170
	buffer_load_dwordx4 a[124:127], v70, s[84:87], 0 offen offset:1024// 000000007118: E05C1400 80957C46
	buffer_load_dword v56, s[20:23], 0 offen lds               // 000000007120: E0511000 80050038
	s_add_u32 m0, 0x100, s49                                   // 000000007128: 807C31FF 00000100
	v_mfma_f32_16x16x32_fp8_fp8 v[76:79], a[114:115], a[66:67], v[76:79]// 000000007130: D3F3004C 1D328572
	v_mfma_f32_16x16x32_fp8_fp8 v[76:79], a[116:117], a[68:69], v[76:79]// 000000007138: D3F3004C 1D328974
	buffer_load_dword v57, s[20:23], 0 offen lds               // 000000007140: E0511000 80050039
	s_add_u32 m0, 0x200, s49                                   // 000000007148: 807C31FF 00000200
	v_mfma_f32_16x16x32_fp8_fp8 v[76:79], a[118:119], a[70:71], v[76:79]// 000000007150: D3F3004C 1D328D76
	v_mfma_f32_16x16x32_fp8_fp8 v[80:83], a[112:113], a[72:73], v[80:83]// 000000007158: D3F30050 1D429170
	buffer_load_dword v58, s[20:23], 0 offen lds               // 000000007160: E0511000 8005003A
	s_add_u32 m0, 0x300, s49                                   // 000000007168: 807C31FF 00000300
	v_mfma_f32_16x16x32_fp8_fp8 v[80:83], a[114:115], a[74:75], v[80:83]// 000000007170: D3F30050 1D429572
	v_mfma_f32_16x16x32_fp8_fp8 v[80:83], a[116:117], a[76:77], v[80:83]// 000000007178: D3F30050 1D429974
	buffer_load_dword v59, s[20:23], 0 offen lds               // 000000007180: E0511000 8005003B
	s_add_u32 m0, 0x400, s49                                   // 000000007188: 807C31FF 00000400
	v_mfma_f32_16x16x32_fp8_fp8 v[80:83], a[118:119], a[78:79], v[80:83]// 000000007190: D3F30050 1D429D76
	v_mfma_f32_16x16x32_fp8_fp8 v[84:87], a[112:113], a[80:81], v[84:87]// 000000007198: D3F30054 1D52A170
	buffer_load_dword v60, s[20:23], 0 offen lds               // 0000000071A0: E0511000 8005003C
	s_add_u32 m0, 0x500, s49                                   // 0000000071A8: 807C31FF 00000500
	v_mfma_f32_16x16x32_fp8_fp8 v[84:87], a[114:115], a[82:83], v[84:87]// 0000000071B0: D3F30054 1D52A572
	v_mfma_f32_16x16x32_fp8_fp8 v[84:87], a[116:117], a[84:85], v[84:87]// 0000000071B8: D3F30054 1D52A974
	buffer_load_dword v61, s[20:23], 0 offen lds               // 0000000071C0: E0511000 8005003D
	s_add_u32 m0, 0x600, s49                                   // 0000000071C8: 807C31FF 00000600
	v_mfma_f32_16x16x32_fp8_fp8 v[84:87], a[118:119], a[86:87], v[84:87]// 0000000071D0: D3F30054 1D52AD76
	v_mfma_f32_16x16x32_fp8_fp8 v[88:91], a[112:113], a[88:89], v[88:91]// 0000000071D8: D3F30058 1D62B170
	buffer_load_dword v62, s[20:23], 0 offen lds               // 0000000071E0: E0511000 8005003E
	s_add_u32 m0, 0x700, s49                                   // 0000000071E8: 807C31FF 00000700
	v_mfma_f32_16x16x32_fp8_fp8 v[88:91], a[114:115], a[90:91], v[88:91]// 0000000071F0: D3F30058 1D62B572
	v_mfma_f32_16x16x32_fp8_fp8 v[88:91], a[116:117], a[92:93], v[88:91]// 0000000071F8: D3F30058 1D62B974
	buffer_load_dword v63, s[20:23], 0 offen lds               // 000000007200: E0511000 8005003F
	s_add_u32 m0, 0x800, s49                                   // 000000007208: 807C31FF 00000800
	v_mfma_f32_16x16x32_fp8_fp8 v[88:91], a[118:119], a[94:95], v[88:91]// 000000007210: D3F30058 1D62BD76
	v_mfma_f32_16x16x32_fp8_fp8 v[92:95], a[112:113], a[96:97], v[92:95]// 000000007218: D3F3005C 1D72C170
	buffer_load_dword v64, s[20:23], 0 offen lds               // 000000007220: E0511000 80050040
	s_add_u32 m0, 0x900, s49                                   // 000000007228: 807C31FF 00000900
	v_mfma_f32_16x16x32_fp8_fp8 v[92:95], a[114:115], a[98:99], v[92:95]// 000000007230: D3F3005C 1D72C572
	v_mfma_f32_16x16x32_fp8_fp8 v[92:95], a[116:117], a[100:101], v[92:95]// 000000007238: D3F3005C 1D72C974
	buffer_load_dword v65, s[20:23], 0 offen lds               // 000000007240: E0511000 80050041
	s_add_u32 m0, 0xa00, s49                                   // 000000007248: 807C31FF 00000A00
	v_mfma_f32_16x16x32_fp8_fp8 v[92:95], a[118:119], a[102:103], v[92:95]// 000000007250: D3F3005C 1D72CD76
	v_mfma_f32_16x16x32_fp8_fp8 v[96:99], a[112:113], a[104:105], v[96:99]// 000000007258: D3F30060 1D82D170
	buffer_load_dword v66, s[20:23], 0 offen lds               // 000000007260: E0511000 80050042
	s_add_u32 m0, 0xb00, s49                                   // 000000007268: 807C31FF 00000B00
	v_mfma_f32_16x16x32_fp8_fp8 v[96:99], a[114:115], a[106:107], v[96:99]// 000000007270: D3F30060 1D82D572
	s_add_u32 s60, 0x80, s80                                   // 000000007278: 803C50FF 00000080
	s_cmp_lt_u32 s60, s81                                      // 000000007280: BF0A513C
	s_cselect_b32 s83, s83, 0                                  // 000000007284: 85538053
	v_mfma_f32_16x16x32_fp8_fp8 v[96:99], a[116:117], a[108:109], v[96:99]// 000000007288: D3F30060 1D82D974
	buffer_load_dword v67, s[20:23], 0 offen lds               // 000000007290: E0511000 80050043
	s_add_u32 m0, 0xc00, s49                                   // 000000007298: 807C31FF 00000C00
	v_mfma_f32_16x16x32_fp8_fp8 v[96:99], a[118:119], a[110:111], v[96:99]// 0000000072A0: D3F30060 1D82DD76
	buffer_load_dword v68, s[20:23], 0 offen lds               // 0000000072A8: E0511000 80050044
	s_add_u32 m0, 0xd00, s49                                   // 0000000072B0: 807C31FF 00000D00
	buffer_load_dword v69, s[20:23], 0 offen lds               // 0000000072B8: E0511000 80050045
	s_add_u32 m0, 0, s48                                       // 0000000072C0: 807C3080
	s_waitcnt vmcnt(14)                                        // 0000000072C4: BF8C0F7E
	v_mfma_f32_16x16x32_fp8_fp8 v[100:103], a[120:121], a[56:57], v[100:103]// 0000000072C8: D3F30064 1D927178
	buffer_load_dwordx4 a[112:115], v70, s[24:27], 0 offen     // 0000000072D0: E05C1000 80867046
	v_mfma_f32_16x16x32_fp8_fp8 v[100:103], a[122:123], a[58:59], v[100:103]// 0000000072D8: D3F30064 1D92757A
	v_mfma_f32_16x16x32_fp8_fp8 v[100:103], a[124:125], a[60:61], v[100:103]// 0000000072E0: D3F30064 1D92797C
	ds_read_b128 a[0:3], v2                                    // 0000000072E8: DBFE0000 00000002
	ds_read_b128 a[4:7], v2 offset:64                          // 0000000072F0: DBFE0040 04000002
	v_mfma_f32_16x16x32_fp8_fp8 v[100:103], a[126:127], a[62:63], v[100:103]// 0000000072F8: D3F30064 1D927D7E
	v_mfma_f32_16x16x32_fp8_fp8 v[104:107], a[120:121], a[64:65], v[104:107]// 000000007300: D3F30068 1DA28178
	buffer_load_dwordx4 a[116:119], v70, s[24:27], 0 offen offset:1024// 000000007308: E05C1400 80867446
	v_mfma_f32_16x16x32_fp8_fp8 v[104:107], a[122:123], a[66:67], v[104:107]// 000000007310: D3F30068 1DA2857A
	v_mfma_f32_16x16x32_fp8_fp8 v[104:107], a[124:125], a[68:69], v[104:107]// 000000007318: D3F30068 1DA2897C
	ds_read_b128 a[8:11], v2 offset:512                        // 000000007320: DBFE0200 08000002
	ds_read_b128 a[12:15], v2 offset:576                       // 000000007328: DBFE0240 0C000002
	v_mfma_f32_16x16x32_fp8_fp8 v[104:107], a[126:127], a[70:71], v[104:107]// 000000007330: D3F30068 1DA28D7E
	v_mfma_f32_16x16x32_fp8_fp8 v[108:111], a[120:121], a[72:73], v[108:111]// 000000007338: D3F3006C 1DB29178
	v_mfma_f32_16x16x32_fp8_fp8 v[108:111], a[122:123], a[74:75], v[108:111]// 000000007340: D3F3006C 1DB2957A
	v_mfma_f32_16x16x32_fp8_fp8 v[108:111], a[124:125], a[76:77], v[108:111]// 000000007348: D3F3006C 1DB2997C
	ds_read_b128 a[16:19], v2 offset:1024                      // 000000007350: DBFE0400 10000002
	ds_read_b128 a[20:23], v2 offset:1088                      // 000000007358: DBFE0440 14000002
	v_mfma_f32_16x16x32_fp8_fp8 v[108:111], a[126:127], a[78:79], v[108:111]// 000000007360: D3F3006C 1DB29D7E
	v_mfma_f32_16x16x32_fp8_fp8 v[112:115], a[120:121], a[80:81], v[112:115]// 000000007368: D3F30070 1DC2A178
	v_mfma_f32_16x16x32_fp8_fp8 v[112:115], a[122:123], a[82:83], v[112:115]// 000000007370: D3F30070 1DC2A57A
	v_mfma_f32_16x16x32_fp8_fp8 v[112:115], a[124:125], a[84:85], v[112:115]// 000000007378: D3F30070 1DC2A97C
	ds_read_b128 a[24:27], v2 offset:1536                      // 000000007380: DBFE0600 18000002
	ds_read_b128 a[28:31], v2 offset:1600                      // 000000007388: DBFE0640 1C000002
	v_mfma_f32_16x16x32_fp8_fp8 v[112:115], a[126:127], a[86:87], v[112:115]// 000000007390: D3F30070 1DC2AD7E
	v_mfma_f32_16x16x32_fp8_fp8 v[116:119], a[120:121], a[88:89], v[116:119]// 000000007398: D3F30074 1DD2B178
	v_mfma_f32_16x16x32_fp8_fp8 v[116:119], a[122:123], a[90:91], v[116:119]// 0000000073A0: D3F30074 1DD2B57A
	v_mfma_f32_16x16x32_fp8_fp8 v[116:119], a[124:125], a[92:93], v[116:119]// 0000000073A8: D3F30074 1DD2B97C
	ds_read_b128 a[32:35], v2 offset:2048                      // 0000000073B0: DBFE0800 20000002
	ds_read_b128 a[36:39], v2 offset:2112                      // 0000000073B8: DBFE0840 24000002
	v_mfma_f32_16x16x32_fp8_fp8 v[116:119], a[126:127], a[94:95], v[116:119]// 0000000073C0: D3F30074 1DD2BD7E
	v_mfma_f32_16x16x32_fp8_fp8 v[120:123], a[120:121], a[96:97], v[120:123]// 0000000073C8: D3F30078 1DE2C178
	v_mfma_f32_16x16x32_fp8_fp8 v[120:123], a[122:123], a[98:99], v[120:123]// 0000000073D0: D3F30078 1DE2C57A
	v_mfma_f32_16x16x32_fp8_fp8 v[120:123], a[124:125], a[100:101], v[120:123]// 0000000073D8: D3F30078 1DE2C97C
	ds_read_b128 a[40:43], v2 offset:2560                      // 0000000073E0: DBFE0A00 28000002
	ds_read_b128 a[44:47], v2 offset:2624                      // 0000000073E8: DBFE0A40 2C000002
	s_add_u32 s60, 0x180, s80                                  // 0000000073F0: 803C50FF 00000180
	s_cmp_lt_u32 s60, s81                                      // 0000000073F8: BF0A513C
	s_cselect_b32 s57, s57, 0                                  // 0000000073FC: 85398039
	v_mfma_f32_16x16x32_fp8_fp8 v[120:123], a[126:127], a[102:103], v[120:123]// 000000007400: D3F30078 1DE2CD7E
	s_add_u32 s60, 0x100, s80                                  // 000000007408: 803C50FF 00000100
	s_cmp_lt_u32 s60, s81                                      // 000000007410: BF0A513C
	s_cselect_b32 s58, s58, 0                                  // 000000007414: 853A803A
	v_mfma_f32_16x16x32_fp8_fp8 v[124:127], a[120:121], a[104:105], v[124:127]// 000000007418: D3F3007C 1DF2D178
	s_add_u32 s24, s58, s24                                    // 000000007420: 8018183A
	s_addc_u32 s25, 0, s25                                     // 000000007424: 82191980
	v_mfma_f32_16x16x32_fp8_fp8 v[124:127], a[122:123], a[106:107], v[124:127]// 000000007428: D3F3007C 1DF2D57A
	s_add_u32 s20, s57, s20                                    // 000000007430: 80141439
	s_addc_u32 s21, 0, s21                                     // 000000007434: 82151580
	v_mfma_f32_16x16x32_fp8_fp8 v[124:127], a[124:125], a[108:109], v[124:127]// 000000007438: D3F3007C 1DF2D97C
	ds_read_b128 a[48:51], v2 offset:3072                      // 000000007440: DBFE0C00 30000002
	ds_read_b128 a[52:55], v2 offset:3136                      // 000000007448: DBFE0C40 34000002
	s_add_u32 s84, s83, s84                                    // 000000007450: 80545453
	s_addc_u32 s85, 0, s85                                     // 000000007454: 82555580
	v_mfma_f32_16x16x32_fp8_fp8 v[124:127], a[126:127], a[110:111], v[124:127]// 000000007458: D3F3007C 1DF2DD7E
	s_addk_i32 s80, 0x80                                       // 000000007460: B7500080
	s_cmp_lt_i32 s80, s81                                      // 000000007464: BF045150
	s_cbranch_scc0 label_129F                                  // 000000007468: BF840001
	s_branch label_10D8                                        // 00000000746C: BF82FE39

0000000000007470 <label_129F>:
	v_mul_f32_dpp v72, v24, v72 row_newbcast:0 row_mask:0xf bank_mask:0xf// 000000007470: 0A9090FA FF015018
	v_mul_f32_dpp v73, v24, v73 row_newbcast:1 row_mask:0xf bank_mask:0xf// 000000007478: 0A9292FA FF015118
	v_mul_f32_dpp v74, v24, v74 row_newbcast:2 row_mask:0xf bank_mask:0xf// 000000007480: 0A9494FA FF015218
	v_mul_f32_dpp v75, v24, v75 row_newbcast:3 row_mask:0xf bank_mask:0xf// 000000007488: 0A9696FA FF015318
	v_mul_f32_dpp v76, v24, v76 row_newbcast:0 row_mask:0xf bank_mask:0xf// 000000007490: 0A9898FA FF015018
	v_mul_f32_dpp v77, v24, v77 row_newbcast:1 row_mask:0xf bank_mask:0xf// 000000007498: 0A9A9AFA FF015118
	v_mul_f32_dpp v78, v24, v78 row_newbcast:2 row_mask:0xf bank_mask:0xf// 0000000074A0: 0A9C9CFA FF015218
	v_mul_f32_dpp v79, v24, v79 row_newbcast:3 row_mask:0xf bank_mask:0xf// 0000000074A8: 0A9E9EFA FF015318
	v_mul_f32_dpp v80, v24, v80 row_newbcast:0 row_mask:0xf bank_mask:0xf// 0000000074B0: 0AA0A0FA FF015018
	v_mul_f32_dpp v81, v24, v81 row_newbcast:1 row_mask:0xf bank_mask:0xf// 0000000074B8: 0AA2A2FA FF015118
	v_mul_f32_dpp v82, v24, v82 row_newbcast:2 row_mask:0xf bank_mask:0xf// 0000000074C0: 0AA4A4FA FF015218
	v_mul_f32_dpp v83, v24, v83 row_newbcast:3 row_mask:0xf bank_mask:0xf// 0000000074C8: 0AA6A6FA FF015318
	v_mul_f32_dpp v84, v24, v84 row_newbcast:0 row_mask:0xf bank_mask:0xf// 0000000074D0: 0AA8A8FA FF015018
	v_mul_f32_dpp v85, v24, v85 row_newbcast:1 row_mask:0xf bank_mask:0xf// 0000000074D8: 0AAAAAFA FF015118
	v_mul_f32_dpp v86, v24, v86 row_newbcast:2 row_mask:0xf bank_mask:0xf// 0000000074E0: 0AACACFA FF015218
	v_mul_f32_dpp v87, v24, v87 row_newbcast:3 row_mask:0xf bank_mask:0xf// 0000000074E8: 0AAEAEFA FF015318
	v_mul_f32_dpp v88, v24, v88 row_newbcast:0 row_mask:0xf bank_mask:0xf// 0000000074F0: 0AB0B0FA FF015018
	v_mul_f32_dpp v89, v24, v89 row_newbcast:1 row_mask:0xf bank_mask:0xf// 0000000074F8: 0AB2B2FA FF015118
	v_mul_f32_dpp v90, v24, v90 row_newbcast:2 row_mask:0xf bank_mask:0xf// 000000007500: 0AB4B4FA FF015218
	v_mul_f32_dpp v91, v24, v91 row_newbcast:3 row_mask:0xf bank_mask:0xf// 000000007508: 0AB6B6FA FF015318
	v_mul_f32_dpp v92, v24, v92 row_newbcast:0 row_mask:0xf bank_mask:0xf// 000000007510: 0AB8B8FA FF015018
	v_mul_f32_dpp v93, v24, v93 row_newbcast:1 row_mask:0xf bank_mask:0xf// 000000007518: 0ABABAFA FF015118
	v_mul_f32_dpp v94, v24, v94 row_newbcast:2 row_mask:0xf bank_mask:0xf// 000000007520: 0ABCBCFA FF015218
	v_mul_f32_dpp v95, v24, v95 row_newbcast:3 row_mask:0xf bank_mask:0xf// 000000007528: 0ABEBEFA FF015318
	v_mul_f32_dpp v96, v24, v96 row_newbcast:0 row_mask:0xf bank_mask:0xf// 000000007530: 0AC0C0FA FF015018
	v_mul_f32_dpp v97, v24, v97 row_newbcast:1 row_mask:0xf bank_mask:0xf// 000000007538: 0AC2C2FA FF015118
	v_mul_f32_dpp v98, v24, v98 row_newbcast:2 row_mask:0xf bank_mask:0xf// 000000007540: 0AC4C4FA FF015218
	v_mul_f32_dpp v99, v24, v99 row_newbcast:3 row_mask:0xf bank_mask:0xf// 000000007548: 0AC6C6FA FF015318
	v_mul_f32_dpp v100, v26, v100 row_newbcast:0 row_mask:0xf bank_mask:0xf// 000000007550: 0AC8C8FA FF01501A
	v_mul_f32_dpp v101, v26, v101 row_newbcast:1 row_mask:0xf bank_mask:0xf// 000000007558: 0ACACAFA FF01511A
	v_mul_f32_dpp v102, v26, v102 row_newbcast:2 row_mask:0xf bank_mask:0xf// 000000007560: 0ACCCCFA FF01521A
	v_mul_f32_dpp v103, v26, v103 row_newbcast:3 row_mask:0xf bank_mask:0xf// 000000007568: 0ACECEFA FF01531A
	v_mul_f32_dpp v104, v26, v104 row_newbcast:0 row_mask:0xf bank_mask:0xf// 000000007570: 0AD0D0FA FF01501A
	v_mul_f32_dpp v105, v26, v105 row_newbcast:1 row_mask:0xf bank_mask:0xf// 000000007578: 0AD2D2FA FF01511A
	v_mul_f32_dpp v106, v26, v106 row_newbcast:2 row_mask:0xf bank_mask:0xf// 000000007580: 0AD4D4FA FF01521A
	v_mul_f32_dpp v107, v26, v107 row_newbcast:3 row_mask:0xf bank_mask:0xf// 000000007588: 0AD6D6FA FF01531A
	v_mul_f32_dpp v108, v26, v108 row_newbcast:0 row_mask:0xf bank_mask:0xf// 000000007590: 0AD8D8FA FF01501A
	v_mul_f32_dpp v109, v26, v109 row_newbcast:1 row_mask:0xf bank_mask:0xf// 000000007598: 0ADADAFA FF01511A
	v_mul_f32_dpp v110, v26, v110 row_newbcast:2 row_mask:0xf bank_mask:0xf// 0000000075A0: 0ADCDCFA FF01521A
	v_mul_f32_dpp v111, v26, v111 row_newbcast:3 row_mask:0xf bank_mask:0xf// 0000000075A8: 0ADEDEFA FF01531A
	v_mul_f32_dpp v112, v26, v112 row_newbcast:0 row_mask:0xf bank_mask:0xf// 0000000075B0: 0AE0E0FA FF01501A
	v_mul_f32_dpp v113, v26, v113 row_newbcast:1 row_mask:0xf bank_mask:0xf// 0000000075B8: 0AE2E2FA FF01511A
	v_mul_f32_dpp v114, v26, v114 row_newbcast:2 row_mask:0xf bank_mask:0xf// 0000000075C0: 0AE4E4FA FF01521A
	v_mul_f32_dpp v115, v26, v115 row_newbcast:3 row_mask:0xf bank_mask:0xf// 0000000075C8: 0AE6E6FA FF01531A
	v_mul_f32_dpp v116, v26, v116 row_newbcast:0 row_mask:0xf bank_mask:0xf// 0000000075D0: 0AE8E8FA FF01501A
	v_mul_f32_dpp v117, v26, v117 row_newbcast:1 row_mask:0xf bank_mask:0xf// 0000000075D8: 0AEAEAFA FF01511A
	v_mul_f32_dpp v118, v26, v118 row_newbcast:2 row_mask:0xf bank_mask:0xf// 0000000075E0: 0AECECFA FF01521A
	v_mul_f32_dpp v119, v26, v119 row_newbcast:3 row_mask:0xf bank_mask:0xf// 0000000075E8: 0AEEEEFA FF01531A
	v_mul_f32_dpp v120, v26, v120 row_newbcast:0 row_mask:0xf bank_mask:0xf// 0000000075F0: 0AF0F0FA FF01501A
	v_mul_f32_dpp v121, v26, v121 row_newbcast:1 row_mask:0xf bank_mask:0xf// 0000000075F8: 0AF2F2FA FF01511A
	v_mul_f32_dpp v122, v26, v122 row_newbcast:2 row_mask:0xf bank_mask:0xf// 000000007600: 0AF4F4FA FF01521A
	v_mul_f32_dpp v123, v26, v123 row_newbcast:3 row_mask:0xf bank_mask:0xf// 000000007608: 0AF6F6FA FF01531A
	v_mul_f32_dpp v124, v26, v124 row_newbcast:0 row_mask:0xf bank_mask:0xf// 000000007610: 0AF8F8FA FF01501A
	v_mul_f32_dpp v125, v26, v125 row_newbcast:1 row_mask:0xf bank_mask:0xf// 000000007618: 0AFAFAFA FF01511A
	v_mul_f32_dpp v126, v26, v126 row_newbcast:2 row_mask:0xf bank_mask:0xf// 000000007620: 0AFCFCFA FF01521A
	v_mul_f32_dpp v127, v26, v127 row_newbcast:3 row_mask:0xf bank_mask:0xf// 000000007628: 0AFEFEFA FF01531A
	v_mul_f32_e32 v35, v35, v128                               // 000000007630: 0A470123
	v_mov_b32_e32 v4, v35                                      // 000000007634: 7E080323
	v_mov_b32_e32 v5, v4                                       // 000000007638: 7E0A0304
	v_pk_mul_f32 v[72:73], v[4:5], v[72:73]                    // 00000000763C: D3B14048 18029104
	v_pk_mul_f32 v[100:101], v[4:5], v[100:101]                // 000000007644: D3B14064 1802C904
	v_pk_mul_f32 v[74:75], v[4:5], v[74:75]                    // 00000000764C: D3B1404A 18029504
	v_pk_mul_f32 v[102:103], v[4:5], v[102:103]                // 000000007654: D3B14066 1802CD04
	v_mul_f32_e32 v36, v36, v129                               // 00000000765C: 0A490324
	v_mov_b32_e32 v4, v36                                      // 000000007660: 7E080324
	v_mov_b32_e32 v5, v4                                       // 000000007664: 7E0A0304
	v_pk_mul_f32 v[76:77], v[4:5], v[76:77]                    // 000000007668: D3B1404C 18029904
	v_pk_mul_f32 v[104:105], v[4:5], v[104:105]                // 000000007670: D3B14068 1802D104
	v_pk_mul_f32 v[78:79], v[4:5], v[78:79]                    // 000000007678: D3B1404E 18029D04
	v_pk_mul_f32 v[106:107], v[4:5], v[106:107]                // 000000007680: D3B1406A 1802D504
	v_mul_f32_e32 v37, v37, v130                               // 000000007688: 0A4B0525
	v_mov_b32_e32 v4, v37                                      // 00000000768C: 7E080325
	v_mov_b32_e32 v5, v4                                       // 000000007690: 7E0A0304
	v_pk_mul_f32 v[80:81], v[4:5], v[80:81]                    // 000000007694: D3B14050 1802A104
	v_pk_mul_f32 v[108:109], v[4:5], v[108:109]                // 00000000769C: D3B1406C 1802D904
	v_pk_mul_f32 v[82:83], v[4:5], v[82:83]                    // 0000000076A4: D3B14052 1802A504
	v_pk_mul_f32 v[110:111], v[4:5], v[110:111]                // 0000000076AC: D3B1406E 1802DD04
	v_mul_f32_e32 v38, v38, v131                               // 0000000076B4: 0A4D0726
	v_mov_b32_e32 v4, v38                                      // 0000000076B8: 7E080326
	v_mov_b32_e32 v5, v4                                       // 0000000076BC: 7E0A0304
	v_pk_mul_f32 v[84:85], v[4:5], v[84:85]                    // 0000000076C0: D3B14054 1802A904
	v_pk_mul_f32 v[112:113], v[4:5], v[112:113]                // 0000000076C8: D3B14070 1802E104
	v_pk_mul_f32 v[86:87], v[4:5], v[86:87]                    // 0000000076D0: D3B14056 1802AD04
	v_pk_mul_f32 v[114:115], v[4:5], v[114:115]                // 0000000076D8: D3B14072 1802E504
	v_mul_f32_e32 v39, v39, v132                               // 0000000076E0: 0A4F0927
	v_mov_b32_e32 v4, v39                                      // 0000000076E4: 7E080327
	v_mov_b32_e32 v5, v4                                       // 0000000076E8: 7E0A0304
	v_pk_mul_f32 v[88:89], v[4:5], v[88:89]                    // 0000000076EC: D3B14058 1802B104
	v_pk_mul_f32 v[116:117], v[4:5], v[116:117]                // 0000000076F4: D3B14074 1802E904
	v_pk_mul_f32 v[90:91], v[4:5], v[90:91]                    // 0000000076FC: D3B1405A 1802B504
	v_pk_mul_f32 v[118:119], v[4:5], v[118:119]                // 000000007704: D3B14076 1802ED04
	v_mul_f32_e32 v40, v40, v133                               // 00000000770C: 0A510B28
	v_mov_b32_e32 v4, v40                                      // 000000007710: 7E080328
	v_mov_b32_e32 v5, v4                                       // 000000007714: 7E0A0304
	v_pk_mul_f32 v[92:93], v[4:5], v[92:93]                    // 000000007718: D3B1405C 1802B904
	v_pk_mul_f32 v[120:121], v[4:5], v[120:121]                // 000000007720: D3B14078 1802F104
	v_pk_mul_f32 v[94:95], v[4:5], v[94:95]                    // 000000007728: D3B1405E 1802BD04
	v_pk_mul_f32 v[122:123], v[4:5], v[122:123]                // 000000007730: D3B1407A 1802F504
	v_mul_f32_e32 v41, v41, v134                               // 000000007738: 0A530D29
	v_mov_b32_e32 v4, v41                                      // 00000000773C: 7E080329
	v_mov_b32_e32 v5, v4                                       // 000000007740: 7E0A0304
	v_pk_mul_f32 v[96:97], v[4:5], v[96:97]                    // 000000007744: D3B14060 1802C104
	v_pk_mul_f32 v[124:125], v[4:5], v[124:125]                // 00000000774C: D3B1407C 1802F904
	v_pk_mul_f32 v[98:99], v[4:5], v[98:99]                    // 000000007754: D3B14062 1802C504
	v_pk_mul_f32 v[126:127], v[4:5], v[126:127]                // 00000000775C: D3B1407E 1802FD04
	s_cmp_eq_u32 s88, 0                                        // 000000007764: BF068058
	s_cbranch_scc0 label_1895                                  // 000000007768: BF840537
	s_cmp_eq_u32 s89, 0                                        // 00000000776C: BF068059
	s_cbranch_scc1 label_147D                                  // 000000007770: BF85011D
	v_mov_b32_e32 v8, v1                                       // 000000007774: 7E100301
	v_mov_b32_e32 v9, v1                                       // 000000007778: 7E120301
	s_mov_b32 s60, s6                                          // 00000000777C: BEBC0006
	s_mov_b32 s61, s6                                          // 000000007780: BEBD0006
	v_pk_mul_f32 v[4:5], v[72:73], v[72:73]                    // 000000007784: D3B14004 18029148
	v_pk_mul_f32 v[6:7], v[74:75], v[74:75]                    // 00000000778C: D3B14006 1802954A
	v_pk_fma_f32 v[4:5], v[4:5], s[78:79], v[8:9]              // 000000007794: D3B04004 1C209D04
	v_pk_fma_f32 v[6:7], v[6:7], s[78:79], v[8:9]              // 00000000779C: D3B04006 1C209D06
	v_pk_mul_f32 v[4:5], v[4:5], v[72:73]                      // 0000000077A4: D3B14004 18029104
	v_pk_mul_f32 v[6:7], v[6:7], v[74:75]                      // 0000000077AC: D3B14006 18029506
	v_pk_mul_f32 v[4:5], v[4:5], s[60:61]                      // 0000000077B4: D3B14004 18007904
	v_pk_mul_f32 v[6:7], v[6:7], s[60:61]                      // 0000000077BC: D3B14006 18007906
	v_exp_f32_e32 v4, v4                                       // 0000000077C4: 7E084104
	v_exp_f32_e32 v5, v5                                       // 0000000077C8: 7E0A4105
	v_exp_f32_e32 v6, v6                                       // 0000000077CC: 7E0C4106
	v_exp_f32_e32 v7, v7                                       // 0000000077D0: 7E0E4107
	v_add_f32_e64 v4, v4, 1.0                                  // 0000000077D4: D1010004 0001E504
	v_add_f32_e64 v5, v5, 1.0                                  // 0000000077DC: D1010005 0001E505
	v_add_f32_e64 v6, v6, 1.0                                  // 0000000077E4: D1010006 0001E506
	v_add_f32_e64 v7, v7, 1.0                                  // 0000000077EC: D1010007 0001E507
	v_rcp_f32_e32 v4, v4                                       // 0000000077F4: 7E084504
	v_rcp_f32_e32 v5, v5                                       // 0000000077F8: 7E0A4505
	v_rcp_f32_e32 v6, v6                                       // 0000000077FC: 7E0C4506
	v_rcp_f32_e32 v7, v7                                       // 000000007800: 7E0E4507
	v_mul_f32_e32 v72, v72, v4                                 // 000000007804: 0A900948
	v_mul_f32_e32 v73, v73, v5                                 // 000000007808: 0A920B49
	v_mul_f32_e32 v74, v74, v6                                 // 00000000780C: 0A940D4A
	v_mul_f32_e32 v75, v75, v7                                 // 000000007810: 0A960F4B
	v_mul_f32_e32 v72, v72, v100                               // 000000007814: 0A90C948
	v_mul_f32_e32 v73, v73, v101                               // 000000007818: 0A92CB49
	v_mul_f32_e32 v74, v74, v102                               // 00000000781C: 0A94CD4A
	v_mul_f32_e32 v75, v75, v103                               // 000000007820: 0A96CF4B
	v_pk_mul_f32 v[4:5], v[76:77], v[76:77]                    // 000000007824: D3B14004 1802994C
	v_pk_mul_f32 v[6:7], v[78:79], v[78:79]                    // 00000000782C: D3B14006 18029D4E
	v_pk_fma_f32 v[4:5], v[4:5], s[78:79], v[8:9]              // 000000007834: D3B04004 1C209D04
	v_pk_fma_f32 v[6:7], v[6:7], s[78:79], v[8:9]              // 00000000783C: D3B04006 1C209D06
	v_pk_mul_f32 v[4:5], v[4:5], v[76:77]                      // 000000007844: D3B14004 18029904
	v_pk_mul_f32 v[6:7], v[6:7], v[78:79]                      // 00000000784C: D3B14006 18029D06
	v_pk_mul_f32 v[4:5], v[4:5], s[60:61]                      // 000000007854: D3B14004 18007904
	v_pk_mul_f32 v[6:7], v[6:7], s[60:61]                      // 00000000785C: D3B14006 18007906
	v_exp_f32_e32 v4, v4                                       // 000000007864: 7E084104
	v_exp_f32_e32 v5, v5                                       // 000000007868: 7E0A4105
	v_exp_f32_e32 v6, v6                                       // 00000000786C: 7E0C4106
	v_exp_f32_e32 v7, v7                                       // 000000007870: 7E0E4107
	v_add_f32_e64 v4, v4, 1.0                                  // 000000007874: D1010004 0001E504
	v_add_f32_e64 v5, v5, 1.0                                  // 00000000787C: D1010005 0001E505
	v_add_f32_e64 v6, v6, 1.0                                  // 000000007884: D1010006 0001E506
	v_add_f32_e64 v7, v7, 1.0                                  // 00000000788C: D1010007 0001E507
	v_rcp_f32_e32 v4, v4                                       // 000000007894: 7E084504
	v_rcp_f32_e32 v5, v5                                       // 000000007898: 7E0A4505
	v_rcp_f32_e32 v6, v6                                       // 00000000789C: 7E0C4506
	v_rcp_f32_e32 v7, v7                                       // 0000000078A0: 7E0E4507
	v_mul_f32_e32 v76, v76, v4                                 // 0000000078A4: 0A98094C
	v_mul_f32_e32 v77, v77, v5                                 // 0000000078A8: 0A9A0B4D
	v_mul_f32_e32 v78, v78, v6                                 // 0000000078AC: 0A9C0D4E
	v_mul_f32_e32 v79, v79, v7                                 // 0000000078B0: 0A9E0F4F
	v_mul_f32_e32 v76, v76, v104                               // 0000000078B4: 0A98D14C
	v_mul_f32_e32 v77, v77, v105                               // 0000000078B8: 0A9AD34D
	v_mul_f32_e32 v78, v78, v106                               // 0000000078BC: 0A9CD54E
	v_mul_f32_e32 v79, v79, v107                               // 0000000078C0: 0A9ED74F
	v_pk_mul_f32 v[4:5], v[80:81], v[80:81]                    // 0000000078C4: D3B14004 1802A150
	v_pk_mul_f32 v[6:7], v[82:83], v[82:83]                    // 0000000078CC: D3B14006 1802A552
	v_pk_fma_f32 v[4:5], v[4:5], s[78:79], v[8:9]              // 0000000078D4: D3B04004 1C209D04
	v_pk_fma_f32 v[6:7], v[6:7], s[78:79], v[8:9]              // 0000000078DC: D3B04006 1C209D06
	v_pk_mul_f32 v[4:5], v[4:5], v[80:81]                      // 0000000078E4: D3B14004 1802A104
	v_pk_mul_f32 v[6:7], v[6:7], v[82:83]                      // 0000000078EC: D3B14006 1802A506
	v_pk_mul_f32 v[4:5], v[4:5], s[60:61]                      // 0000000078F4: D3B14004 18007904
	v_pk_mul_f32 v[6:7], v[6:7], s[60:61]                      // 0000000078FC: D3B14006 18007906
	v_exp_f32_e32 v4, v4                                       // 000000007904: 7E084104
	v_exp_f32_e32 v5, v5                                       // 000000007908: 7E0A4105
	v_exp_f32_e32 v6, v6                                       // 00000000790C: 7E0C4106
	v_exp_f32_e32 v7, v7                                       // 000000007910: 7E0E4107
	v_add_f32_e64 v4, v4, 1.0                                  // 000000007914: D1010004 0001E504
	v_add_f32_e64 v5, v5, 1.0                                  // 00000000791C: D1010005 0001E505
	v_add_f32_e64 v6, v6, 1.0                                  // 000000007924: D1010006 0001E506
	v_add_f32_e64 v7, v7, 1.0                                  // 00000000792C: D1010007 0001E507
	v_rcp_f32_e32 v4, v4                                       // 000000007934: 7E084504
	v_rcp_f32_e32 v5, v5                                       // 000000007938: 7E0A4505
	v_rcp_f32_e32 v6, v6                                       // 00000000793C: 7E0C4506
	v_rcp_f32_e32 v7, v7                                       // 000000007940: 7E0E4507
	v_mul_f32_e32 v80, v80, v4                                 // 000000007944: 0AA00950
	v_mul_f32_e32 v81, v81, v5                                 // 000000007948: 0AA20B51
	v_mul_f32_e32 v82, v82, v6                                 // 00000000794C: 0AA40D52
	v_mul_f32_e32 v83, v83, v7                                 // 000000007950: 0AA60F53
	v_mul_f32_e32 v80, v80, v108                               // 000000007954: 0AA0D950
	v_mul_f32_e32 v81, v81, v109                               // 000000007958: 0AA2DB51
	v_mul_f32_e32 v82, v82, v110                               // 00000000795C: 0AA4DD52
	v_mul_f32_e32 v83, v83, v111                               // 000000007960: 0AA6DF53
	v_pk_mul_f32 v[4:5], v[84:85], v[84:85]                    // 000000007964: D3B14004 1802A954
	v_pk_mul_f32 v[6:7], v[86:87], v[86:87]                    // 00000000796C: D3B14006 1802AD56
	v_pk_fma_f32 v[4:5], v[4:5], s[78:79], v[8:9]              // 000000007974: D3B04004 1C209D04
	v_pk_fma_f32 v[6:7], v[6:7], s[78:79], v[8:9]              // 00000000797C: D3B04006 1C209D06
	v_pk_mul_f32 v[4:5], v[4:5], v[84:85]                      // 000000007984: D3B14004 1802A904
	v_pk_mul_f32 v[6:7], v[6:7], v[86:87]                      // 00000000798C: D3B14006 1802AD06
	v_pk_mul_f32 v[4:5], v[4:5], s[60:61]                      // 000000007994: D3B14004 18007904
	v_pk_mul_f32 v[6:7], v[6:7], s[60:61]                      // 00000000799C: D3B14006 18007906
	v_exp_f32_e32 v4, v4                                       // 0000000079A4: 7E084104
	v_exp_f32_e32 v5, v5                                       // 0000000079A8: 7E0A4105
	v_exp_f32_e32 v6, v6                                       // 0000000079AC: 7E0C4106
	v_exp_f32_e32 v7, v7                                       // 0000000079B0: 7E0E4107
	v_add_f32_e64 v4, v4, 1.0                                  // 0000000079B4: D1010004 0001E504
	v_add_f32_e64 v5, v5, 1.0                                  // 0000000079BC: D1010005 0001E505
	v_add_f32_e64 v6, v6, 1.0                                  // 0000000079C4: D1010006 0001E506
	v_add_f32_e64 v7, v7, 1.0                                  // 0000000079CC: D1010007 0001E507
	v_rcp_f32_e32 v4, v4                                       // 0000000079D4: 7E084504
	v_rcp_f32_e32 v5, v5                                       // 0000000079D8: 7E0A4505
	v_rcp_f32_e32 v6, v6                                       // 0000000079DC: 7E0C4506
	v_rcp_f32_e32 v7, v7                                       // 0000000079E0: 7E0E4507
	v_mul_f32_e32 v84, v84, v4                                 // 0000000079E4: 0AA80954
	v_mul_f32_e32 v85, v85, v5                                 // 0000000079E8: 0AAA0B55
	v_mul_f32_e32 v86, v86, v6                                 // 0000000079EC: 0AAC0D56
	v_mul_f32_e32 v87, v87, v7                                 // 0000000079F0: 0AAE0F57
	v_mul_f32_e32 v84, v84, v112                               // 0000000079F4: 0AA8E154
	v_mul_f32_e32 v85, v85, v113                               // 0000000079F8: 0AAAE355
	v_mul_f32_e32 v86, v86, v114                               // 0000000079FC: 0AACE556
	v_mul_f32_e32 v87, v87, v115                               // 000000007A00: 0AAEE757
	v_pk_mul_f32 v[4:5], v[88:89], v[88:89]                    // 000000007A04: D3B14004 1802B158
	v_pk_mul_f32 v[6:7], v[90:91], v[90:91]                    // 000000007A0C: D3B14006 1802B55A
	v_pk_fma_f32 v[4:5], v[4:5], s[78:79], v[8:9]              // 000000007A14: D3B04004 1C209D04
	v_pk_fma_f32 v[6:7], v[6:7], s[78:79], v[8:9]              // 000000007A1C: D3B04006 1C209D06
	v_pk_mul_f32 v[4:5], v[4:5], v[88:89]                      // 000000007A24: D3B14004 1802B104
	v_pk_mul_f32 v[6:7], v[6:7], v[90:91]                      // 000000007A2C: D3B14006 1802B506
	v_pk_mul_f32 v[4:5], v[4:5], s[60:61]                      // 000000007A34: D3B14004 18007904
	v_pk_mul_f32 v[6:7], v[6:7], s[60:61]                      // 000000007A3C: D3B14006 18007906
	v_exp_f32_e32 v4, v4                                       // 000000007A44: 7E084104
	v_exp_f32_e32 v5, v5                                       // 000000007A48: 7E0A4105
	v_exp_f32_e32 v6, v6                                       // 000000007A4C: 7E0C4106
	v_exp_f32_e32 v7, v7                                       // 000000007A50: 7E0E4107
	v_add_f32_e64 v4, v4, 1.0                                  // 000000007A54: D1010004 0001E504
	v_add_f32_e64 v5, v5, 1.0                                  // 000000007A5C: D1010005 0001E505
	v_add_f32_e64 v6, v6, 1.0                                  // 000000007A64: D1010006 0001E506
	v_add_f32_e64 v7, v7, 1.0                                  // 000000007A6C: D1010007 0001E507
	v_rcp_f32_e32 v4, v4                                       // 000000007A74: 7E084504
	v_rcp_f32_e32 v5, v5                                       // 000000007A78: 7E0A4505
	v_rcp_f32_e32 v6, v6                                       // 000000007A7C: 7E0C4506
	v_rcp_f32_e32 v7, v7                                       // 000000007A80: 7E0E4507
	v_mul_f32_e32 v88, v88, v4                                 // 000000007A84: 0AB00958
	v_mul_f32_e32 v89, v89, v5                                 // 000000007A88: 0AB20B59
	v_mul_f32_e32 v90, v90, v6                                 // 000000007A8C: 0AB40D5A
	v_mul_f32_e32 v91, v91, v7                                 // 000000007A90: 0AB60F5B
	v_mul_f32_e32 v88, v88, v116                               // 000000007A94: 0AB0E958
	v_mul_f32_e32 v89, v89, v117                               // 000000007A98: 0AB2EB59
	v_mul_f32_e32 v90, v90, v118                               // 000000007A9C: 0AB4ED5A
	v_mul_f32_e32 v91, v91, v119                               // 000000007AA0: 0AB6EF5B
	v_pk_mul_f32 v[4:5], v[92:93], v[92:93]                    // 000000007AA4: D3B14004 1802B95C
	v_pk_mul_f32 v[6:7], v[94:95], v[94:95]                    // 000000007AAC: D3B14006 1802BD5E
	v_pk_fma_f32 v[4:5], v[4:5], s[78:79], v[8:9]              // 000000007AB4: D3B04004 1C209D04
	v_pk_fma_f32 v[6:7], v[6:7], s[78:79], v[8:9]              // 000000007ABC: D3B04006 1C209D06
	v_pk_mul_f32 v[4:5], v[4:5], v[92:93]                      // 000000007AC4: D3B14004 1802B904
	v_pk_mul_f32 v[6:7], v[6:7], v[94:95]                      // 000000007ACC: D3B14006 1802BD06
	v_pk_mul_f32 v[4:5], v[4:5], s[60:61]                      // 000000007AD4: D3B14004 18007904
	v_pk_mul_f32 v[6:7], v[6:7], s[60:61]                      // 000000007ADC: D3B14006 18007906
	v_exp_f32_e32 v4, v4                                       // 000000007AE4: 7E084104
	v_exp_f32_e32 v5, v5                                       // 000000007AE8: 7E0A4105
	v_exp_f32_e32 v6, v6                                       // 000000007AEC: 7E0C4106
	v_exp_f32_e32 v7, v7                                       // 000000007AF0: 7E0E4107
	v_add_f32_e64 v4, v4, 1.0                                  // 000000007AF4: D1010004 0001E504
	v_add_f32_e64 v5, v5, 1.0                                  // 000000007AFC: D1010005 0001E505
	v_add_f32_e64 v6, v6, 1.0                                  // 000000007B04: D1010006 0001E506
	v_add_f32_e64 v7, v7, 1.0                                  // 000000007B0C: D1010007 0001E507
	v_rcp_f32_e32 v4, v4                                       // 000000007B14: 7E084504
	v_rcp_f32_e32 v5, v5                                       // 000000007B18: 7E0A4505
	v_rcp_f32_e32 v6, v6                                       // 000000007B1C: 7E0C4506
	v_rcp_f32_e32 v7, v7                                       // 000000007B20: 7E0E4507
	v_mul_f32_e32 v92, v92, v4                                 // 000000007B24: 0AB8095C
	v_mul_f32_e32 v93, v93, v5                                 // 000000007B28: 0ABA0B5D
	v_mul_f32_e32 v94, v94, v6                                 // 000000007B2C: 0ABC0D5E
	v_mul_f32_e32 v95, v95, v7                                 // 000000007B30: 0ABE0F5F
	v_mul_f32_e32 v92, v92, v120                               // 000000007B34: 0AB8F15C
	v_mul_f32_e32 v93, v93, v121                               // 000000007B38: 0ABAF35D
	v_mul_f32_e32 v94, v94, v122                               // 000000007B3C: 0ABCF55E
	v_mul_f32_e32 v95, v95, v123                               // 000000007B40: 0ABEF75F
	v_pk_mul_f32 v[4:5], v[96:97], v[96:97]                    // 000000007B44: D3B14004 1802C160
	v_pk_mul_f32 v[6:7], v[98:99], v[98:99]                    // 000000007B4C: D3B14006 1802C562
	v_pk_fma_f32 v[4:5], v[4:5], s[78:79], v[8:9]              // 000000007B54: D3B04004 1C209D04
	v_pk_fma_f32 v[6:7], v[6:7], s[78:79], v[8:9]              // 000000007B5C: D3B04006 1C209D06
	v_pk_mul_f32 v[4:5], v[4:5], v[96:97]                      // 000000007B64: D3B14004 1802C104
	v_pk_mul_f32 v[6:7], v[6:7], v[98:99]                      // 000000007B6C: D3B14006 1802C506
	v_pk_mul_f32 v[4:5], v[4:5], s[60:61]                      // 000000007B74: D3B14004 18007904
	v_pk_mul_f32 v[6:7], v[6:7], s[60:61]                      // 000000007B7C: D3B14006 18007906
	v_exp_f32_e32 v4, v4                                       // 000000007B84: 7E084104
	v_exp_f32_e32 v5, v5                                       // 000000007B88: 7E0A4105
	v_exp_f32_e32 v6, v6                                       // 000000007B8C: 7E0C4106
	v_exp_f32_e32 v7, v7                                       // 000000007B90: 7E0E4107
	v_add_f32_e64 v4, v4, 1.0                                  // 000000007B94: D1010004 0001E504
	v_add_f32_e64 v5, v5, 1.0                                  // 000000007B9C: D1010005 0001E505
	v_add_f32_e64 v6, v6, 1.0                                  // 000000007BA4: D1010006 0001E506
	v_add_f32_e64 v7, v7, 1.0                                  // 000000007BAC: D1010007 0001E507
	v_rcp_f32_e32 v4, v4                                       // 000000007BB4: 7E084504
	v_rcp_f32_e32 v5, v5                                       // 000000007BB8: 7E0A4505
	v_rcp_f32_e32 v6, v6                                       // 000000007BBC: 7E0C4506
	v_rcp_f32_e32 v7, v7                                       // 000000007BC0: 7E0E4507
	v_mul_f32_e32 v96, v96, v4                                 // 000000007BC4: 0AC00960
	v_mul_f32_e32 v97, v97, v5                                 // 000000007BC8: 0AC20B61
	v_mul_f32_e32 v98, v98, v6                                 // 000000007BCC: 0AC40D62
	v_mul_f32_e32 v99, v99, v7                                 // 000000007BD0: 0AC60F63
	v_mul_f32_e32 v96, v96, v124                               // 000000007BD4: 0AC0F960
	v_mul_f32_e32 v97, v97, v125                               // 000000007BD8: 0AC2FB61
	v_mul_f32_e32 v98, v98, v126                               // 000000007BDC: 0AC4FD62
	v_mul_f32_e32 v99, v99, v127                               // 000000007BE0: 0AC6FF63
	s_branch label_155D                                        // 000000007BE4: BF8200E0

0000000000007be8 <label_147D>:
	v_mul_f32_e64 v4, -v72, s6                                 // 000000007BE8: D1050004 20000D48
	v_mul_f32_e64 v5, -v73, s6                                 // 000000007BF0: D1050005 20000D49
	v_mul_f32_e64 v6, -v74, s6                                 // 000000007BF8: D1050006 20000D4A
	v_mul_f32_e64 v7, -v75, s6                                 // 000000007C00: D1050007 20000D4B
	v_exp_f32_e32 v4, v4                                       // 000000007C08: 7E084104
	v_exp_f32_e32 v5, v5                                       // 000000007C0C: 7E0A4105
	v_exp_f32_e32 v6, v6                                       // 000000007C10: 7E0C4106
	v_exp_f32_e32 v7, v7                                       // 000000007C14: 7E0E4107
	v_add_f32_e64 v4, v4, 1.0                                  // 000000007C18: D1010004 0001E504
	v_add_f32_e64 v5, v5, 1.0                                  // 000000007C20: D1010005 0001E505
	v_add_f32_e64 v6, v6, 1.0                                  // 000000007C28: D1010006 0001E506
	v_add_f32_e64 v7, v7, 1.0                                  // 000000007C30: D1010007 0001E507
	v_rcp_f32_e32 v4, v4                                       // 000000007C38: 7E084504
	v_rcp_f32_e32 v5, v5                                       // 000000007C3C: 7E0A4505
	v_rcp_f32_e32 v6, v6                                       // 000000007C40: 7E0C4506
	v_rcp_f32_e32 v7, v7                                       // 000000007C44: 7E0E4507
	v_mul_f32_e32 v72, v72, v4                                 // 000000007C48: 0A900948
	v_mul_f32_e32 v73, v73, v5                                 // 000000007C4C: 0A920B49
	v_mul_f32_e32 v74, v74, v6                                 // 000000007C50: 0A940D4A
	v_mul_f32_e32 v75, v75, v7                                 // 000000007C54: 0A960F4B
	v_mul_f32_e32 v72, v72, v100                               // 000000007C58: 0A90C948
	v_mul_f32_e32 v73, v73, v101                               // 000000007C5C: 0A92CB49
	v_mul_f32_e32 v74, v74, v102                               // 000000007C60: 0A94CD4A
	v_mul_f32_e32 v75, v75, v103                               // 000000007C64: 0A96CF4B
	v_mul_f32_e64 v4, -v76, s6                                 // 000000007C68: D1050004 20000D4C
	v_mul_f32_e64 v5, -v77, s6                                 // 000000007C70: D1050005 20000D4D
	v_mul_f32_e64 v6, -v78, s6                                 // 000000007C78: D1050006 20000D4E
	v_mul_f32_e64 v7, -v79, s6                                 // 000000007C80: D1050007 20000D4F
	v_exp_f32_e32 v4, v4                                       // 000000007C88: 7E084104
	v_exp_f32_e32 v5, v5                                       // 000000007C8C: 7E0A4105
	v_exp_f32_e32 v6, v6                                       // 000000007C90: 7E0C4106
	v_exp_f32_e32 v7, v7                                       // 000000007C94: 7E0E4107
	v_add_f32_e64 v4, v4, 1.0                                  // 000000007C98: D1010004 0001E504
	v_add_f32_e64 v5, v5, 1.0                                  // 000000007CA0: D1010005 0001E505
	v_add_f32_e64 v6, v6, 1.0                                  // 000000007CA8: D1010006 0001E506
	v_add_f32_e64 v7, v7, 1.0                                  // 000000007CB0: D1010007 0001E507
	v_rcp_f32_e32 v4, v4                                       // 000000007CB8: 7E084504
	v_rcp_f32_e32 v5, v5                                       // 000000007CBC: 7E0A4505
	v_rcp_f32_e32 v6, v6                                       // 000000007CC0: 7E0C4506
	v_rcp_f32_e32 v7, v7                                       // 000000007CC4: 7E0E4507
	v_mul_f32_e32 v76, v76, v4                                 // 000000007CC8: 0A98094C
	v_mul_f32_e32 v77, v77, v5                                 // 000000007CCC: 0A9A0B4D
	v_mul_f32_e32 v78, v78, v6                                 // 000000007CD0: 0A9C0D4E
	v_mul_f32_e32 v79, v79, v7                                 // 000000007CD4: 0A9E0F4F
	v_mul_f32_e32 v76, v76, v104                               // 000000007CD8: 0A98D14C
	v_mul_f32_e32 v77, v77, v105                               // 000000007CDC: 0A9AD34D
	v_mul_f32_e32 v78, v78, v106                               // 000000007CE0: 0A9CD54E
	v_mul_f32_e32 v79, v79, v107                               // 000000007CE4: 0A9ED74F
	v_mul_f32_e64 v4, -v80, s6                                 // 000000007CE8: D1050004 20000D50
	v_mul_f32_e64 v5, -v81, s6                                 // 000000007CF0: D1050005 20000D51
	v_mul_f32_e64 v6, -v82, s6                                 // 000000007CF8: D1050006 20000D52
	v_mul_f32_e64 v7, -v83, s6                                 // 000000007D00: D1050007 20000D53
	v_exp_f32_e32 v4, v4                                       // 000000007D08: 7E084104
	v_exp_f32_e32 v5, v5                                       // 000000007D0C: 7E0A4105
	v_exp_f32_e32 v6, v6                                       // 000000007D10: 7E0C4106
	v_exp_f32_e32 v7, v7                                       // 000000007D14: 7E0E4107
	v_add_f32_e64 v4, v4, 1.0                                  // 000000007D18: D1010004 0001E504
	v_add_f32_e64 v5, v5, 1.0                                  // 000000007D20: D1010005 0001E505
	v_add_f32_e64 v6, v6, 1.0                                  // 000000007D28: D1010006 0001E506
	v_add_f32_e64 v7, v7, 1.0                                  // 000000007D30: D1010007 0001E507
	v_rcp_f32_e32 v4, v4                                       // 000000007D38: 7E084504
	v_rcp_f32_e32 v5, v5                                       // 000000007D3C: 7E0A4505
	v_rcp_f32_e32 v6, v6                                       // 000000007D40: 7E0C4506
	v_rcp_f32_e32 v7, v7                                       // 000000007D44: 7E0E4507
	v_mul_f32_e32 v80, v80, v4                                 // 000000007D48: 0AA00950
	v_mul_f32_e32 v81, v81, v5                                 // 000000007D4C: 0AA20B51
	v_mul_f32_e32 v82, v82, v6                                 // 000000007D50: 0AA40D52
	v_mul_f32_e32 v83, v83, v7                                 // 000000007D54: 0AA60F53
	v_mul_f32_e32 v80, v80, v108                               // 000000007D58: 0AA0D950
	v_mul_f32_e32 v81, v81, v109                               // 000000007D5C: 0AA2DB51
	v_mul_f32_e32 v82, v82, v110                               // 000000007D60: 0AA4DD52
	v_mul_f32_e32 v83, v83, v111                               // 000000007D64: 0AA6DF53
	v_mul_f32_e64 v4, -v84, s6                                 // 000000007D68: D1050004 20000D54
	v_mul_f32_e64 v5, -v85, s6                                 // 000000007D70: D1050005 20000D55
	v_mul_f32_e64 v6, -v86, s6                                 // 000000007D78: D1050006 20000D56
	v_mul_f32_e64 v7, -v87, s6                                 // 000000007D80: D1050007 20000D57
	v_exp_f32_e32 v4, v4                                       // 000000007D88: 7E084104
	v_exp_f32_e32 v5, v5                                       // 000000007D8C: 7E0A4105
	v_exp_f32_e32 v6, v6                                       // 000000007D90: 7E0C4106
	v_exp_f32_e32 v7, v7                                       // 000000007D94: 7E0E4107
	v_add_f32_e64 v4, v4, 1.0                                  // 000000007D98: D1010004 0001E504
	v_add_f32_e64 v5, v5, 1.0                                  // 000000007DA0: D1010005 0001E505
	v_add_f32_e64 v6, v6, 1.0                                  // 000000007DA8: D1010006 0001E506
	v_add_f32_e64 v7, v7, 1.0                                  // 000000007DB0: D1010007 0001E507
	v_rcp_f32_e32 v4, v4                                       // 000000007DB8: 7E084504
	v_rcp_f32_e32 v5, v5                                       // 000000007DBC: 7E0A4505
	v_rcp_f32_e32 v6, v6                                       // 000000007DC0: 7E0C4506
	v_rcp_f32_e32 v7, v7                                       // 000000007DC4: 7E0E4507
	v_mul_f32_e32 v84, v84, v4                                 // 000000007DC8: 0AA80954
	v_mul_f32_e32 v85, v85, v5                                 // 000000007DCC: 0AAA0B55
	v_mul_f32_e32 v86, v86, v6                                 // 000000007DD0: 0AAC0D56
	v_mul_f32_e32 v87, v87, v7                                 // 000000007DD4: 0AAE0F57
	v_mul_f32_e32 v84, v84, v112                               // 000000007DD8: 0AA8E154
	v_mul_f32_e32 v85, v85, v113                               // 000000007DDC: 0AAAE355
	v_mul_f32_e32 v86, v86, v114                               // 000000007DE0: 0AACE556
	v_mul_f32_e32 v87, v87, v115                               // 000000007DE4: 0AAEE757
	v_mul_f32_e64 v4, -v88, s6                                 // 000000007DE8: D1050004 20000D58
	v_mul_f32_e64 v5, -v89, s6                                 // 000000007DF0: D1050005 20000D59
	v_mul_f32_e64 v6, -v90, s6                                 // 000000007DF8: D1050006 20000D5A
	v_mul_f32_e64 v7, -v91, s6                                 // 000000007E00: D1050007 20000D5B
	v_exp_f32_e32 v4, v4                                       // 000000007E08: 7E084104
	v_exp_f32_e32 v5, v5                                       // 000000007E0C: 7E0A4105
	v_exp_f32_e32 v6, v6                                       // 000000007E10: 7E0C4106
	v_exp_f32_e32 v7, v7                                       // 000000007E14: 7E0E4107
	v_add_f32_e64 v4, v4, 1.0                                  // 000000007E18: D1010004 0001E504
	v_add_f32_e64 v5, v5, 1.0                                  // 000000007E20: D1010005 0001E505
	v_add_f32_e64 v6, v6, 1.0                                  // 000000007E28: D1010006 0001E506
	v_add_f32_e64 v7, v7, 1.0                                  // 000000007E30: D1010007 0001E507
	v_rcp_f32_e32 v4, v4                                       // 000000007E38: 7E084504
	v_rcp_f32_e32 v5, v5                                       // 000000007E3C: 7E0A4505
	v_rcp_f32_e32 v6, v6                                       // 000000007E40: 7E0C4506
	v_rcp_f32_e32 v7, v7                                       // 000000007E44: 7E0E4507
	v_mul_f32_e32 v88, v88, v4                                 // 000000007E48: 0AB00958
	v_mul_f32_e32 v89, v89, v5                                 // 000000007E4C: 0AB20B59
	v_mul_f32_e32 v90, v90, v6                                 // 000000007E50: 0AB40D5A
	v_mul_f32_e32 v91, v91, v7                                 // 000000007E54: 0AB60F5B
	v_mul_f32_e32 v88, v88, v116                               // 000000007E58: 0AB0E958
	v_mul_f32_e32 v89, v89, v117                               // 000000007E5C: 0AB2EB59
	v_mul_f32_e32 v90, v90, v118                               // 000000007E60: 0AB4ED5A
	v_mul_f32_e32 v91, v91, v119                               // 000000007E64: 0AB6EF5B
	v_mul_f32_e64 v4, -v92, s6                                 // 000000007E68: D1050004 20000D5C
	v_mul_f32_e64 v5, -v93, s6                                 // 000000007E70: D1050005 20000D5D
	v_mul_f32_e64 v6, -v94, s6                                 // 000000007E78: D1050006 20000D5E
	v_mul_f32_e64 v7, -v95, s6                                 // 000000007E80: D1050007 20000D5F
	v_exp_f32_e32 v4, v4                                       // 000000007E88: 7E084104
	v_exp_f32_e32 v5, v5                                       // 000000007E8C: 7E0A4105
	v_exp_f32_e32 v6, v6                                       // 000000007E90: 7E0C4106
	v_exp_f32_e32 v7, v7                                       // 000000007E94: 7E0E4107
	v_add_f32_e64 v4, v4, 1.0                                  // 000000007E98: D1010004 0001E504
	v_add_f32_e64 v5, v5, 1.0                                  // 000000007EA0: D1010005 0001E505
	v_add_f32_e64 v6, v6, 1.0                                  // 000000007EA8: D1010006 0001E506
	v_add_f32_e64 v7, v7, 1.0                                  // 000000007EB0: D1010007 0001E507
	v_rcp_f32_e32 v4, v4                                       // 000000007EB8: 7E084504
	v_rcp_f32_e32 v5, v5                                       // 000000007EBC: 7E0A4505
	v_rcp_f32_e32 v6, v6                                       // 000000007EC0: 7E0C4506
	v_rcp_f32_e32 v7, v7                                       // 000000007EC4: 7E0E4507
	v_mul_f32_e32 v92, v92, v4                                 // 000000007EC8: 0AB8095C
	v_mul_f32_e32 v93, v93, v5                                 // 000000007ECC: 0ABA0B5D
	v_mul_f32_e32 v94, v94, v6                                 // 000000007ED0: 0ABC0D5E
	v_mul_f32_e32 v95, v95, v7                                 // 000000007ED4: 0ABE0F5F
	v_mul_f32_e32 v92, v92, v120                               // 000000007ED8: 0AB8F15C
	v_mul_f32_e32 v93, v93, v121                               // 000000007EDC: 0ABAF35D
	v_mul_f32_e32 v94, v94, v122                               // 000000007EE0: 0ABCF55E
	v_mul_f32_e32 v95, v95, v123                               // 000000007EE4: 0ABEF75F
	v_mul_f32_e64 v4, -v96, s6                                 // 000000007EE8: D1050004 20000D60
	v_mul_f32_e64 v5, -v97, s6                                 // 000000007EF0: D1050005 20000D61
	v_mul_f32_e64 v6, -v98, s6                                 // 000000007EF8: D1050006 20000D62
	v_mul_f32_e64 v7, -v99, s6                                 // 000000007F00: D1050007 20000D63
	v_exp_f32_e32 v4, v4                                       // 000000007F08: 7E084104
	v_exp_f32_e32 v5, v5                                       // 000000007F0C: 7E0A4105
	v_exp_f32_e32 v6, v6                                       // 000000007F10: 7E0C4106
	v_exp_f32_e32 v7, v7                                       // 000000007F14: 7E0E4107
	v_add_f32_e64 v4, v4, 1.0                                  // 000000007F18: D1010004 0001E504
	v_add_f32_e64 v5, v5, 1.0                                  // 000000007F20: D1010005 0001E505
	v_add_f32_e64 v6, v6, 1.0                                  // 000000007F28: D1010006 0001E506
	v_add_f32_e64 v7, v7, 1.0                                  // 000000007F30: D1010007 0001E507
	v_rcp_f32_e32 v4, v4                                       // 000000007F38: 7E084504
	v_rcp_f32_e32 v5, v5                                       // 000000007F3C: 7E0A4505
	v_rcp_f32_e32 v6, v6                                       // 000000007F40: 7E0C4506
	v_rcp_f32_e32 v7, v7                                       // 000000007F44: 7E0E4507
	v_mul_f32_e32 v96, v96, v4                                 // 000000007F48: 0AC00960
	v_mul_f32_e32 v97, v97, v5                                 // 000000007F4C: 0AC20B61
	v_mul_f32_e32 v98, v98, v6                                 // 000000007F50: 0AC40D62
	v_mul_f32_e32 v99, v99, v7                                 // 000000007F54: 0AC60F63
	v_mul_f32_e32 v96, v96, v124                               // 000000007F58: 0AC0F960
	v_mul_f32_e32 v97, v97, v125                               // 000000007F5C: 0AC2FB61
	v_mul_f32_e32 v98, v98, v126                               // 000000007F60: 0AC4FD62
	v_mul_f32_e32 v99, v99, v127                               // 000000007F64: 0AC6FF63

0000000000007f68 <label_155D>:
	v_cmp_u_f32_e64 s[46:47], v72, v72                         // 000000007F68: D048002E 00029148
	v_add3_u32 v16, v72, v19, 1                                // 000000007F70: D1FF0010 02062748
	v_cndmask_b32_e64 v4, v16, v18, s[46:47]                   // 000000007F78: D1000004 00BA2510
	v_cmp_u_f32_e64 s[46:47], v73, v73                         // 000000007F80: D048002E 00029349
	v_add3_u32 v16, v73, v19, 1                                // 000000007F88: D1FF0010 02062749
	v_cndmask_b32_e64 v5, v16, v18, s[46:47]                   // 000000007F90: D1000005 00BA2510
	v_perm_b32 v72, v5, v4, s52                                // 000000007F98: D1ED0048 00D20905
	v_cmp_u_f32_e64 s[46:47], v74, v74                         // 000000007FA0: D048002E 0002954A
	v_add3_u32 v16, v74, v19, 1                                // 000000007FA8: D1FF0010 0206274A
	v_cndmask_b32_e64 v4, v16, v18, s[46:47]                   // 000000007FB0: D1000004 00BA2510
	v_cmp_u_f32_e64 s[46:47], v75, v75                         // 000000007FB8: D048002E 0002974B
	v_add3_u32 v16, v75, v19, 1                                // 000000007FC0: D1FF0010 0206274B
	v_cndmask_b32_e64 v5, v16, v18, s[46:47]                   // 000000007FC8: D1000005 00BA2510
	v_perm_b32 v73, v5, v4, s52                                // 000000007FD0: D1ED0049 00D20905
	v_cmp_u_f32_e64 s[46:47], v76, v76                         // 000000007FD8: D048002E 0002994C
	v_add3_u32 v16, v76, v19, 1                                // 000000007FE0: D1FF0010 0206274C
	v_cndmask_b32_e64 v4, v16, v18, s[46:47]                   // 000000007FE8: D1000004 00BA2510
	v_cmp_u_f32_e64 s[46:47], v77, v77                         // 000000007FF0: D048002E 00029B4D
	v_add3_u32 v16, v77, v19, 1                                // 000000007FF8: D1FF0010 0206274D
	v_cndmask_b32_e64 v5, v16, v18, s[46:47]                   // 000000008000: D1000005 00BA2510
	v_perm_b32 v74, v5, v4, s52                                // 000000008008: D1ED004A 00D20905
	v_cmp_u_f32_e64 s[46:47], v78, v78                         // 000000008010: D048002E 00029D4E
	v_add3_u32 v16, v78, v19, 1                                // 000000008018: D1FF0010 0206274E
	v_cndmask_b32_e64 v4, v16, v18, s[46:47]                   // 000000008020: D1000004 00BA2510
	v_cmp_u_f32_e64 s[46:47], v79, v79                         // 000000008028: D048002E 00029F4F
	v_add3_u32 v16, v79, v19, 1                                // 000000008030: D1FF0010 0206274F
	v_cndmask_b32_e64 v5, v16, v18, s[46:47]                   // 000000008038: D1000005 00BA2510
	v_perm_b32 v75, v5, v4, s52                                // 000000008040: D1ED004B 00D20905
	v_cmp_u_f32_e64 s[46:47], v80, v80                         // 000000008048: D048002E 0002A150
	v_add3_u32 v16, v80, v19, 1                                // 000000008050: D1FF0010 02062750
	v_cndmask_b32_e64 v4, v16, v18, s[46:47]                   // 000000008058: D1000004 00BA2510
	v_cmp_u_f32_e64 s[46:47], v81, v81                         // 000000008060: D048002E 0002A351
	v_add3_u32 v16, v81, v19, 1                                // 000000008068: D1FF0010 02062751
	v_cndmask_b32_e64 v5, v16, v18, s[46:47]                   // 000000008070: D1000005 00BA2510
	v_perm_b32 v76, v5, v4, s52                                // 000000008078: D1ED004C 00D20905
	v_cmp_u_f32_e64 s[46:47], v82, v82                         // 000000008080: D048002E 0002A552
	v_add3_u32 v16, v82, v19, 1                                // 000000008088: D1FF0010 02062752
	v_cndmask_b32_e64 v4, v16, v18, s[46:47]                   // 000000008090: D1000004 00BA2510
	v_cmp_u_f32_e64 s[46:47], v83, v83                         // 000000008098: D048002E 0002A753
	v_add3_u32 v16, v83, v19, 1                                // 0000000080A0: D1FF0010 02062753
	v_cndmask_b32_e64 v5, v16, v18, s[46:47]                   // 0000000080A8: D1000005 00BA2510
	v_perm_b32 v77, v5, v4, s52                                // 0000000080B0: D1ED004D 00D20905
	v_cmp_u_f32_e64 s[46:47], v84, v84                         // 0000000080B8: D048002E 0002A954
	v_add3_u32 v16, v84, v19, 1                                // 0000000080C0: D1FF0010 02062754
	v_cndmask_b32_e64 v4, v16, v18, s[46:47]                   // 0000000080C8: D1000004 00BA2510
	v_cmp_u_f32_e64 s[46:47], v85, v85                         // 0000000080D0: D048002E 0002AB55
	v_add3_u32 v16, v85, v19, 1                                // 0000000080D8: D1FF0010 02062755
	v_cndmask_b32_e64 v5, v16, v18, s[46:47]                   // 0000000080E0: D1000005 00BA2510
	v_perm_b32 v78, v5, v4, s52                                // 0000000080E8: D1ED004E 00D20905
	v_cmp_u_f32_e64 s[46:47], v86, v86                         // 0000000080F0: D048002E 0002AD56
	v_add3_u32 v16, v86, v19, 1                                // 0000000080F8: D1FF0010 02062756
	v_cndmask_b32_e64 v4, v16, v18, s[46:47]                   // 000000008100: D1000004 00BA2510
	v_cmp_u_f32_e64 s[46:47], v87, v87                         // 000000008108: D048002E 0002AF57
	v_add3_u32 v16, v87, v19, 1                                // 000000008110: D1FF0010 02062757
	v_cndmask_b32_e64 v5, v16, v18, s[46:47]                   // 000000008118: D1000005 00BA2510
	v_perm_b32 v79, v5, v4, s52                                // 000000008120: D1ED004F 00D20905
	v_cmp_u_f32_e64 s[46:47], v88, v88                         // 000000008128: D048002E 0002B158
	v_add3_u32 v16, v88, v19, 1                                // 000000008130: D1FF0010 02062758
	v_cndmask_b32_e64 v4, v16, v18, s[46:47]                   // 000000008138: D1000004 00BA2510
	v_cmp_u_f32_e64 s[46:47], v89, v89                         // 000000008140: D048002E 0002B359
	v_add3_u32 v16, v89, v19, 1                                // 000000008148: D1FF0010 02062759
	v_cndmask_b32_e64 v5, v16, v18, s[46:47]                   // 000000008150: D1000005 00BA2510
	v_perm_b32 v80, v5, v4, s52                                // 000000008158: D1ED0050 00D20905
	v_cmp_u_f32_e64 s[46:47], v90, v90                         // 000000008160: D048002E 0002B55A
	v_add3_u32 v16, v90, v19, 1                                // 000000008168: D1FF0010 0206275A
	v_cndmask_b32_e64 v4, v16, v18, s[46:47]                   // 000000008170: D1000004 00BA2510
	v_cmp_u_f32_e64 s[46:47], v91, v91                         // 000000008178: D048002E 0002B75B
	v_add3_u32 v16, v91, v19, 1                                // 000000008180: D1FF0010 0206275B
	v_cndmask_b32_e64 v5, v16, v18, s[46:47]                   // 000000008188: D1000005 00BA2510
	v_perm_b32 v81, v5, v4, s52                                // 000000008190: D1ED0051 00D20905
	v_cmp_u_f32_e64 s[46:47], v92, v92                         // 000000008198: D048002E 0002B95C
	v_add3_u32 v16, v92, v19, 1                                // 0000000081A0: D1FF0010 0206275C
	v_cndmask_b32_e64 v4, v16, v18, s[46:47]                   // 0000000081A8: D1000004 00BA2510
	v_cmp_u_f32_e64 s[46:47], v93, v93                         // 0000000081B0: D048002E 0002BB5D
	v_add3_u32 v16, v93, v19, 1                                // 0000000081B8: D1FF0010 0206275D
	v_cndmask_b32_e64 v5, v16, v18, s[46:47]                   // 0000000081C0: D1000005 00BA2510
	v_perm_b32 v82, v5, v4, s52                                // 0000000081C8: D1ED0052 00D20905
	v_cmp_u_f32_e64 s[46:47], v94, v94                         // 0000000081D0: D048002E 0002BD5E
	v_add3_u32 v16, v94, v19, 1                                // 0000000081D8: D1FF0010 0206275E
	v_cndmask_b32_e64 v4, v16, v18, s[46:47]                   // 0000000081E0: D1000004 00BA2510
	v_cmp_u_f32_e64 s[46:47], v95, v95                         // 0000000081E8: D048002E 0002BF5F
	v_add3_u32 v16, v95, v19, 1                                // 0000000081F0: D1FF0010 0206275F
	v_cndmask_b32_e64 v5, v16, v18, s[46:47]                   // 0000000081F8: D1000005 00BA2510
	v_perm_b32 v83, v5, v4, s52                                // 000000008200: D1ED0053 00D20905
	v_cmp_u_f32_e64 s[46:47], v96, v96                         // 000000008208: D048002E 0002C160
	v_add3_u32 v16, v96, v19, 1                                // 000000008210: D1FF0010 02062760
	v_cndmask_b32_e64 v4, v16, v18, s[46:47]                   // 000000008218: D1000004 00BA2510
	v_cmp_u_f32_e64 s[46:47], v97, v97                         // 000000008220: D048002E 0002C361
	v_add3_u32 v16, v97, v19, 1                                // 000000008228: D1FF0010 02062761
	v_cndmask_b32_e64 v5, v16, v18, s[46:47]                   // 000000008230: D1000005 00BA2510
	v_perm_b32 v84, v5, v4, s52                                // 000000008238: D1ED0054 00D20905
	v_cmp_u_f32_e64 s[46:47], v98, v98                         // 000000008240: D048002E 0002C562
	v_add3_u32 v16, v98, v19, 1                                // 000000008248: D1FF0010 02062762
	v_cndmask_b32_e64 v4, v16, v18, s[46:47]                   // 000000008250: D1000004 00BA2510
	v_cmp_u_f32_e64 s[46:47], v99, v99                         // 000000008258: D048002E 0002C763
	v_add3_u32 v16, v99, v19, 1                                // 000000008260: D1FF0010 02062763
	v_cndmask_b32_e64 v5, v16, v18, s[46:47]                   // 000000008268: D1000005 00BA2510
	v_perm_b32 v85, v5, v4, s52                                // 000000008270: D1ED0055 00D20905
	ds_write_b64 v20, v[72:73]                                 // 000000008278: D89A0000 00004814
	ds_write_b64 v20, v[74:75] offset:2176                     // 000000008280: D89A0880 00004A14
	ds_write_b64 v20, v[76:77] offset:4352                     // 000000008288: D89A1100 00004C14
	ds_write_b64 v20, v[78:79] offset:6528                     // 000000008290: D89A1980 00004E14
	ds_write_b64 v20, v[80:81] offset:8704                     // 000000008298: D89A2200 00005014
	ds_write_b64 v20, v[82:83] offset:10880                    // 0000000082A0: D89A2A80 00005214
	ds_write_b64 v20, v[84:85] offset:13056                    // 0000000082A8: D89A3300 00005414
	v_lshrrev_b32_e32 v4, 5, v0                                // 0000000082B0: 20080085
	v_xor_b32_e32 v5, 1, v4                                    // 0000000082B4: 2A0A0881
	s_mul_i32 s60, s65, 2                                      // 0000000082B8: 923C8241
	s_cmp_eq_u32 s88, 0                                        // 0000000082BC: BF068058
	s_cselect_b32 s61, 1, 4                                    // 0000000082C0: 853D8481
	s_mul_i32 s60, s61, s60                                    // 0000000082C4: 923C3C3D
	v_readlane_b32 s82, v3, 0                                  // 0000000082C8: D2890052 00010103
	s_lshr_b32 s61, s82, 24                                    // 0000000082D0: 8F3D9852
	s_and_b32 s82, s82, 0xffffff                               // 0000000082D4: 8652FF52 00FFFFFF
	s_mul_i32 s82, s82, s71                                    // 0000000082DC: 92524752
	s_mul_i32 s61, s60, s61                                    // 0000000082E0: 923D3D3C
	s_add_u32 s82, s82, s61                                    // 0000000082E4: 80523D52
	v_mul_lo_u32 v6, v5, s82                                   // 0000000082E8: D2850006 0000A505
	v_readlane_b32 s82, v3, 1                                  // 0000000082F0: D2890052 00010303
	s_lshr_b32 s61, s82, 24                                    // 0000000082F8: 8F3D9852
	s_and_b32 s82, s82, 0xffffff                               // 0000000082FC: 8652FF52 00FFFFFF
	s_mul_i32 s82, s82, s71                                    // 000000008304: 92524752
	s_mul_i32 s61, s60, s61                                    // 000000008308: 923D3D3C
	s_add_u32 s82, s82, s61                                    // 00000000830C: 80523D52
	v_mul_lo_u32 v7, v4, s82                                   // 000000008310: D2850007 0000A504
	v_add_u32_e32 v56, v6, v7                                  // 000000008318: 68700F06
	v_readlane_b32 s82, v3, 2                                  // 00000000831C: D2890052 00010503
	s_lshr_b32 s61, s82, 24                                    // 000000008324: 8F3D9852
	s_and_b32 s82, s82, 0xffffff                               // 000000008328: 8652FF52 00FFFFFF
	s_mul_i32 s82, s82, s71                                    // 000000008330: 92524752
	s_mul_i32 s61, s60, s61                                    // 000000008334: 923D3D3C
	s_add_u32 s82, s82, s61                                    // 000000008338: 80523D52
	v_mul_lo_u32 v6, v5, s82                                   // 00000000833C: D2850006 0000A505
	v_readlane_b32 s82, v3, 3                                  // 000000008344: D2890052 00010703
	s_lshr_b32 s61, s82, 24                                    // 00000000834C: 8F3D9852
	s_and_b32 s82, s82, 0xffffff                               // 000000008350: 8652FF52 00FFFFFF
	s_mul_i32 s82, s82, s71                                    // 000000008358: 92524752
	s_mul_i32 s61, s60, s61                                    // 00000000835C: 923D3D3C
	s_add_u32 s82, s82, s61                                    // 000000008360: 80523D52
	v_mul_lo_u32 v7, v4, s82                                   // 000000008364: D2850007 0000A504
	v_add_u32_e32 v57, v6, v7                                  // 00000000836C: 68720F06
	v_readlane_b32 s82, v3, 4                                  // 000000008370: D2890052 00010903
	s_lshr_b32 s61, s82, 24                                    // 000000008378: 8F3D9852
	s_and_b32 s82, s82, 0xffffff                               // 00000000837C: 8652FF52 00FFFFFF
	s_mul_i32 s82, s82, s71                                    // 000000008384: 92524752
	s_mul_i32 s61, s60, s61                                    // 000000008388: 923D3D3C
	s_add_u32 s82, s82, s61                                    // 00000000838C: 80523D52
	v_mul_lo_u32 v6, v5, s82                                   // 000000008390: D2850006 0000A505
	v_readlane_b32 s82, v3, 5                                  // 000000008398: D2890052 00010B03
	s_lshr_b32 s61, s82, 24                                    // 0000000083A0: 8F3D9852
	s_and_b32 s82, s82, 0xffffff                               // 0000000083A4: 8652FF52 00FFFFFF
	s_mul_i32 s82, s82, s71                                    // 0000000083AC: 92524752
	s_mul_i32 s61, s60, s61                                    // 0000000083B0: 923D3D3C
	s_add_u32 s82, s82, s61                                    // 0000000083B4: 80523D52
	v_mul_lo_u32 v7, v4, s82                                   // 0000000083B8: D2850007 0000A504
	v_add_u32_e32 v58, v6, v7                                  // 0000000083C0: 68740F06
	v_readlane_b32 s82, v3, 6                                  // 0000000083C4: D2890052 00010D03
	s_lshr_b32 s61, s82, 24                                    // 0000000083CC: 8F3D9852
	s_and_b32 s82, s82, 0xffffff                               // 0000000083D0: 8652FF52 00FFFFFF
	s_mul_i32 s82, s82, s71                                    // 0000000083D8: 92524752
	s_mul_i32 s61, s60, s61                                    // 0000000083DC: 923D3D3C
	s_add_u32 s82, s82, s61                                    // 0000000083E0: 80523D52
	v_mul_lo_u32 v6, v5, s82                                   // 0000000083E4: D2850006 0000A505
	v_readlane_b32 s82, v3, 7                                  // 0000000083EC: D2890052 00010F03
	s_lshr_b32 s61, s82, 24                                    // 0000000083F4: 8F3D9852
	s_and_b32 s82, s82, 0xffffff                               // 0000000083F8: 8652FF52 00FFFFFF
	s_mul_i32 s82, s82, s71                                    // 000000008400: 92524752
	s_mul_i32 s61, s60, s61                                    // 000000008404: 923D3D3C
	s_add_u32 s82, s82, s61                                    // 000000008408: 80523D52
	v_mul_lo_u32 v7, v4, s82                                   // 00000000840C: D2850007 0000A504
	v_add_u32_e32 v59, v6, v7                                  // 000000008414: 68760F06
	v_readlane_b32 s82, v3, 8                                  // 000000008418: D2890052 00011103
	s_lshr_b32 s61, s82, 24                                    // 000000008420: 8F3D9852
	s_and_b32 s82, s82, 0xffffff                               // 000000008424: 8652FF52 00FFFFFF
	s_mul_i32 s82, s82, s71                                    // 00000000842C: 92524752
	s_mul_i32 s61, s60, s61                                    // 000000008430: 923D3D3C
	s_add_u32 s82, s82, s61                                    // 000000008434: 80523D52
	v_mul_lo_u32 v6, v5, s82                                   // 000000008438: D2850006 0000A505
	v_readlane_b32 s82, v3, 9                                  // 000000008440: D2890052 00011303
	s_lshr_b32 s61, s82, 24                                    // 000000008448: 8F3D9852
	s_and_b32 s82, s82, 0xffffff                               // 00000000844C: 8652FF52 00FFFFFF
	s_mul_i32 s82, s82, s71                                    // 000000008454: 92524752
	s_mul_i32 s61, s60, s61                                    // 000000008458: 923D3D3C
	s_add_u32 s82, s82, s61                                    // 00000000845C: 80523D52
	v_mul_lo_u32 v7, v4, s82                                   // 000000008460: D2850007 0000A504
	v_add_u32_e32 v60, v6, v7                                  // 000000008468: 68780F06
	v_readlane_b32 s82, v3, 10                                 // 00000000846C: D2890052 00011503
	s_lshr_b32 s61, s82, 24                                    // 000000008474: 8F3D9852
	s_and_b32 s82, s82, 0xffffff                               // 000000008478: 8652FF52 00FFFFFF
	s_mul_i32 s82, s82, s71                                    // 000000008480: 92524752
	s_mul_i32 s61, s60, s61                                    // 000000008484: 923D3D3C
	s_add_u32 s82, s82, s61                                    // 000000008488: 80523D52
	v_mul_lo_u32 v6, v5, s82                                   // 00000000848C: D2850006 0000A505
	v_readlane_b32 s82, v3, 11                                 // 000000008494: D2890052 00011703
	s_lshr_b32 s61, s82, 24                                    // 00000000849C: 8F3D9852
	s_and_b32 s82, s82, 0xffffff                               // 0000000084A0: 8652FF52 00FFFFFF
	s_mul_i32 s82, s82, s71                                    // 0000000084A8: 92524752
	s_mul_i32 s61, s60, s61                                    // 0000000084AC: 923D3D3C
	s_add_u32 s82, s82, s61                                    // 0000000084B0: 80523D52
	v_mul_lo_u32 v7, v4, s82                                   // 0000000084B4: D2850007 0000A504
	v_add_u32_e32 v61, v6, v7                                  // 0000000084BC: 687A0F06
	v_readlane_b32 s82, v3, 12                                 // 0000000084C0: D2890052 00011903
	s_lshr_b32 s61, s82, 24                                    // 0000000084C8: 8F3D9852
	s_and_b32 s82, s82, 0xffffff                               // 0000000084CC: 8652FF52 00FFFFFF
	s_mul_i32 s82, s82, s71                                    // 0000000084D4: 92524752
	s_mul_i32 s61, s60, s61                                    // 0000000084D8: 923D3D3C
	s_add_u32 s82, s82, s61                                    // 0000000084DC: 80523D52
	v_mul_lo_u32 v6, v5, s82                                   // 0000000084E0: D2850006 0000A505
	v_readlane_b32 s82, v3, 13                                 // 0000000084E8: D2890052 00011B03
	s_lshr_b32 s61, s82, 24                                    // 0000000084F0: 8F3D9852
	s_and_b32 s82, s82, 0xffffff                               // 0000000084F4: 8652FF52 00FFFFFF
	s_mul_i32 s82, s82, s71                                    // 0000000084FC: 92524752
	s_mul_i32 s61, s60, s61                                    // 000000008500: 923D3D3C
	s_add_u32 s82, s82, s61                                    // 000000008504: 80523D52
	v_mul_lo_u32 v7, v4, s82                                   // 000000008508: D2850007 0000A504
	v_add_u32_e32 v62, v6, v7                                  // 000000008510: 687C0F06
	v_readlane_b32 s82, v3, 14                                 // 000000008514: D2890052 00011D03
	s_lshr_b32 s61, s82, 24                                    // 00000000851C: 8F3D9852
	s_and_b32 s82, s82, 0xffffff                               // 000000008520: 8652FF52 00FFFFFF
	s_mul_i32 s82, s82, s71                                    // 000000008528: 92524752
	s_mul_i32 s61, s60, s61                                    // 00000000852C: 923D3D3C
	s_add_u32 s82, s82, s61                                    // 000000008530: 80523D52
	v_mul_lo_u32 v6, v5, s82                                   // 000000008534: D2850006 0000A505
	v_readlane_b32 s82, v3, 15                                 // 00000000853C: D2890052 00011F03
	s_lshr_b32 s61, s82, 24                                    // 000000008544: 8F3D9852
	s_and_b32 s82, s82, 0xffffff                               // 000000008548: 8652FF52 00FFFFFF
	s_mul_i32 s82, s82, s71                                    // 000000008550: 92524752
	s_mul_i32 s61, s60, s61                                    // 000000008554: 923D3D3C
	s_add_u32 s82, s82, s61                                    // 000000008558: 80523D52
	v_mul_lo_u32 v7, v4, s82                                   // 00000000855C: D2850007 0000A504
	v_add_u32_e32 v63, v6, v7                                  // 000000008564: 687E0F06
	v_readlane_b32 s82, v3, 16                                 // 000000008568: D2890052 00012103
	s_lshr_b32 s61, s82, 24                                    // 000000008570: 8F3D9852
	s_and_b32 s82, s82, 0xffffff                               // 000000008574: 8652FF52 00FFFFFF
	s_mul_i32 s82, s82, s71                                    // 00000000857C: 92524752
	s_mul_i32 s61, s60, s61                                    // 000000008580: 923D3D3C
	s_add_u32 s82, s82, s61                                    // 000000008584: 80523D52
	v_mul_lo_u32 v6, v5, s82                                   // 000000008588: D2850006 0000A505
	v_readlane_b32 s82, v3, 17                                 // 000000008590: D2890052 00012303
	s_lshr_b32 s61, s82, 24                                    // 000000008598: 8F3D9852
	s_and_b32 s82, s82, 0xffffff                               // 00000000859C: 8652FF52 00FFFFFF
	s_mul_i32 s82, s82, s71                                    // 0000000085A4: 92524752
	s_mul_i32 s61, s60, s61                                    // 0000000085A8: 923D3D3C
	s_add_u32 s82, s82, s61                                    // 0000000085AC: 80523D52
	v_mul_lo_u32 v7, v4, s82                                   // 0000000085B0: D2850007 0000A504
	v_add_u32_e32 v64, v6, v7                                  // 0000000085B8: 68800F06
	v_readlane_b32 s82, v3, 18                                 // 0000000085BC: D2890052 00012503
	s_lshr_b32 s61, s82, 24                                    // 0000000085C4: 8F3D9852
	s_and_b32 s82, s82, 0xffffff                               // 0000000085C8: 8652FF52 00FFFFFF
	s_mul_i32 s82, s82, s71                                    // 0000000085D0: 92524752
	s_mul_i32 s61, s60, s61                                    // 0000000085D4: 923D3D3C
	s_add_u32 s82, s82, s61                                    // 0000000085D8: 80523D52
	v_mul_lo_u32 v6, v5, s82                                   // 0000000085DC: D2850006 0000A505
	v_readlane_b32 s82, v3, 19                                 // 0000000085E4: D2890052 00012703
	s_lshr_b32 s61, s82, 24                                    // 0000000085EC: 8F3D9852
	s_and_b32 s82, s82, 0xffffff                               // 0000000085F0: 8652FF52 00FFFFFF
	s_mul_i32 s82, s82, s71                                    // 0000000085F8: 92524752
	s_mul_i32 s61, s60, s61                                    // 0000000085FC: 923D3D3C
	s_add_u32 s82, s82, s61                                    // 000000008600: 80523D52
	v_mul_lo_u32 v7, v4, s82                                   // 000000008604: D2850007 0000A504
	v_add_u32_e32 v65, v6, v7                                  // 00000000860C: 68820F06
	v_readlane_b32 s82, v3, 20                                 // 000000008610: D2890052 00012903
	s_lshr_b32 s61, s82, 24                                    // 000000008618: 8F3D9852
	s_and_b32 s82, s82, 0xffffff                               // 00000000861C: 8652FF52 00FFFFFF
	s_mul_i32 s82, s82, s71                                    // 000000008624: 92524752
	s_mul_i32 s61, s60, s61                                    // 000000008628: 923D3D3C
	s_add_u32 s82, s82, s61                                    // 00000000862C: 80523D52
	v_mul_lo_u32 v6, v5, s82                                   // 000000008630: D2850006 0000A505
	v_readlane_b32 s82, v3, 21                                 // 000000008638: D2890052 00012B03
	s_lshr_b32 s61, s82, 24                                    // 000000008640: 8F3D9852
	s_and_b32 s82, s82, 0xffffff                               // 000000008644: 8652FF52 00FFFFFF
	s_mul_i32 s82, s82, s71                                    // 00000000864C: 92524752
	s_mul_i32 s61, s60, s61                                    // 000000008650: 923D3D3C
	s_add_u32 s82, s82, s61                                    // 000000008654: 80523D52
	v_mul_lo_u32 v7, v4, s82                                   // 000000008658: D2850007 0000A504
	v_add_u32_e32 v66, v6, v7                                  // 000000008660: 68840F06
	v_readlane_b32 s82, v3, 22                                 // 000000008664: D2890052 00012D03
	s_lshr_b32 s61, s82, 24                                    // 00000000866C: 8F3D9852
	s_and_b32 s82, s82, 0xffffff                               // 000000008670: 8652FF52 00FFFFFF
	s_mul_i32 s82, s82, s71                                    // 000000008678: 92524752
	s_mul_i32 s61, s60, s61                                    // 00000000867C: 923D3D3C
	s_add_u32 s82, s82, s61                                    // 000000008680: 80523D52
	v_mul_lo_u32 v6, v5, s82                                   // 000000008684: D2850006 0000A505
	v_readlane_b32 s82, v3, 23                                 // 00000000868C: D2890052 00012F03
	s_lshr_b32 s61, s82, 24                                    // 000000008694: 8F3D9852
	s_and_b32 s82, s82, 0xffffff                               // 000000008698: 8652FF52 00FFFFFF
	s_mul_i32 s82, s82, s71                                    // 0000000086A0: 92524752
	s_mul_i32 s61, s60, s61                                    // 0000000086A4: 923D3D3C
	s_add_u32 s82, s82, s61                                    // 0000000086A8: 80523D52
	v_mul_lo_u32 v7, v4, s82                                   // 0000000086AC: D2850007 0000A504
	v_add_u32_e32 v67, v6, v7                                  // 0000000086B4: 68860F06
	v_readlane_b32 s82, v3, 24                                 // 0000000086B8: D2890052 00013103
	s_lshr_b32 s61, s82, 24                                    // 0000000086C0: 8F3D9852
	s_and_b32 s82, s82, 0xffffff                               // 0000000086C4: 8652FF52 00FFFFFF
	s_mul_i32 s82, s82, s71                                    // 0000000086CC: 92524752
	s_mul_i32 s61, s60, s61                                    // 0000000086D0: 923D3D3C
	s_add_u32 s82, s82, s61                                    // 0000000086D4: 80523D52
	v_mul_lo_u32 v6, v5, s82                                   // 0000000086D8: D2850006 0000A505
	v_readlane_b32 s82, v3, 25                                 // 0000000086E0: D2890052 00013303
	s_lshr_b32 s61, s82, 24                                    // 0000000086E8: 8F3D9852
	s_and_b32 s82, s82, 0xffffff                               // 0000000086EC: 8652FF52 00FFFFFF
	s_mul_i32 s82, s82, s71                                    // 0000000086F4: 92524752
	s_mul_i32 s61, s60, s61                                    // 0000000086F8: 923D3D3C
	s_add_u32 s82, s82, s61                                    // 0000000086FC: 80523D52
	v_mul_lo_u32 v7, v4, s82                                   // 000000008700: D2850007 0000A504
	v_add_u32_e32 v68, v6, v7                                  // 000000008708: 68880F06
	v_readlane_b32 s82, v3, 26                                 // 00000000870C: D2890052 00013503
	s_lshr_b32 s61, s82, 24                                    // 000000008714: 8F3D9852
	s_and_b32 s82, s82, 0xffffff                               // 000000008718: 8652FF52 00FFFFFF
	s_mul_i32 s82, s82, s71                                    // 000000008720: 92524752
	s_mul_i32 s61, s60, s61                                    // 000000008724: 923D3D3C
	s_add_u32 s82, s82, s61                                    // 000000008728: 80523D52
	v_mul_lo_u32 v6, v5, s82                                   // 00000000872C: D2850006 0000A505
	v_readlane_b32 s82, v3, 27                                 // 000000008734: D2890052 00013703
	s_lshr_b32 s61, s82, 24                                    // 00000000873C: 8F3D9852
	s_and_b32 s82, s82, 0xffffff                               // 000000008740: 8652FF52 00FFFFFF
	s_mul_i32 s82, s82, s71                                    // 000000008748: 92524752
	s_mul_i32 s61, s60, s61                                    // 00000000874C: 923D3D3C
	s_add_u32 s82, s82, s61                                    // 000000008750: 80523D52
	v_mul_lo_u32 v7, v4, s82                                   // 000000008754: D2850007 0000A504
	v_add_u32_e32 v69, v6, v7                                  // 00000000875C: 688A0F06
	v_and_b32_e32 v4, 31, v0                                   // 000000008760: 2608009F
	v_lshrrev_b32_e32 v4, 1, v4                                // 000000008764: 20080881
	s_cmp_eq_u32 s88, 0                                        // 000000008768: BF068058
	s_cselect_b32 s61, 2, 4                                    // 00000000876C: 853D8482
	v_mul_lo_u32 v4, v4, s61                                   // 000000008770: D2850004 00007B04
	v_and_b32_e64 v5, v0, 1                                    // 000000008778: D1130005 00010300
	v_add_u32_e32 v4, v4, v5                                   // 000000008780: 68080B04
	v_lshlrev_b32_e32 v4, 2, v4                                // 000000008784: 24080882
	v_add_u32_e32 v56, v56, v4                                 // 000000008788: 68700938
	v_add_u32_e32 v57, v57, v4                                 // 00000000878C: 68720939
	v_add_u32_e32 v58, v58, v4                                 // 000000008790: 6874093A
	v_add_u32_e32 v59, v59, v4                                 // 000000008794: 6876093B
	v_add_u32_e32 v60, v60, v4                                 // 000000008798: 6878093C
	v_add_u32_e32 v61, v61, v4                                 // 00000000879C: 687A093D
	v_add_u32_e32 v62, v62, v4                                 // 0000000087A0: 687C093E
	v_add_u32_e32 v63, v63, v4                                 // 0000000087A4: 687E093F
	v_add_u32_e32 v64, v64, v4                                 // 0000000087A8: 68800940
	v_add_u32_e32 v65, v65, v4                                 // 0000000087AC: 68820941
	v_add_u32_e32 v66, v66, v4                                 // 0000000087B0: 68840942
	v_add_u32_e32 v67, v67, v4                                 // 0000000087B4: 68860943
	v_add_u32_e32 v68, v68, v4                                 // 0000000087B8: 68880944
	v_add_u32_e32 v69, v69, v4                                 // 0000000087BC: 688A0945
	s_waitcnt lgkmcnt(0)                                       // 0000000087C0: BF8CC07F
	s_barrier                                                  // 0000000087C4: BF8A0000
	ds_read_b32 v72, v21                                       // 0000000087C8: D86C0000 48000015
	ds_read_b32 v73, v21 offset:64                             // 0000000087D0: D86C0040 49000015
	ds_read_b32 v74, v21 offset:2176                           // 0000000087D8: D86C0880 4A000015
	ds_read_b32 v75, v21 offset:2240                           // 0000000087E0: D86C08C0 4B000015
	ds_read_b32 v76, v21 offset:4352                           // 0000000087E8: D86C1100 4C000015
	ds_read_b32 v77, v21 offset:4416                           // 0000000087F0: D86C1140 4D000015
	ds_read_b32 v78, v21 offset:6528                           // 0000000087F8: D86C1980 4E000015
	ds_read_b32 v79, v21 offset:6592                           // 000000008800: D86C19C0 4F000015
	ds_read_b32 v80, v21 offset:8704                           // 000000008808: D86C2200 50000015
	ds_read_b32 v81, v21 offset:8768                           // 000000008810: D86C2240 51000015
	ds_read_b32 v82, v21 offset:10880                          // 000000008818: D86C2A80 52000015
	ds_read_b32 v83, v21 offset:10944                          // 000000008820: D86C2AC0 53000015
	ds_read_b32 v84, v21 offset:13056                          // 000000008828: D86C3300 54000015
	ds_read_b32 v85, v21 offset:13120                          // 000000008830: D86C3340 55000015
	s_waitcnt lgkmcnt(0)                                       // 000000008838: BF8CC07F
	s_mov_b32 s36, -1                                          // 00000000883C: BEA400C1
	s_mov_b32 s37, -1                                          // 000000008840: BEA500C1
	v_mov_b32_e32 v7, 0                                        // 000000008844: 7E0E0280
	s_or_b32 s9, s9, 0x40000                                   // 000000008848: 8709FF09 00040000
	s_mov_b64 exec, s[36:37]                                   // 000000008850: BEFE0124
	v_mov_b32_e32 v6, v56                                      // 000000008854: 7E0C0338
	s_mov_b64 s[60:61], 0                                      // 000000008858: BEBC0180
	v_readlane_b32 s82, v3, 0                                  // 00000000885C: D2890052 00010103
	s_and_b32 s82, s82, 0xffffff                               // 000000008864: 8652FF52 00FFFFFF
	s_cmp_lt_u32 s82, s66                                      // 00000000886C: BF0A4252
	s_cselect_b32 s20, s36, s60                                // 000000008870: 85143C24
	v_readlane_b32 s82, v3, 1                                  // 000000008874: D2890052 00010303
	s_and_b32 s82, s82, 0xffffff                               // 00000000887C: 8652FF52 00FFFFFF
	s_cmp_lt_u32 s82, s66                                      // 000000008884: BF0A4252
	s_cselect_b32 s21, s36, s60                                // 000000008888: 85153C24
	s_mov_b64 exec, s[20:21]                                   // 00000000888C: BEFE0114
	buffer_store_dword v72, v6, s[8:11], 0 offen               // 000000008890: E0701000 80024806
	s_mov_b64 exec, s[36:37]                                   // 000000008898: BEFE0124
	v_mov_b32_e32 v6, v57                                      // 00000000889C: 7E0C0339
	s_mov_b64 s[60:61], 0                                      // 0000000088A0: BEBC0180
	v_readlane_b32 s82, v3, 2                                  // 0000000088A4: D2890052 00010503
	s_and_b32 s82, s82, 0xffffff                               // 0000000088AC: 8652FF52 00FFFFFF
	s_cmp_lt_u32 s82, s66                                      // 0000000088B4: BF0A4252
	s_cselect_b32 s20, s36, s60                                // 0000000088B8: 85143C24
	v_readlane_b32 s82, v3, 3                                  // 0000000088BC: D2890052 00010703
	s_and_b32 s82, s82, 0xffffff                               // 0000000088C4: 8652FF52 00FFFFFF
	s_cmp_lt_u32 s82, s66                                      // 0000000088CC: BF0A4252
	s_cselect_b32 s21, s36, s60                                // 0000000088D0: 85153C24
	s_mov_b64 exec, s[20:21]                                   // 0000000088D4: BEFE0114
	buffer_store_dword v73, v6, s[8:11], 0 offen               // 0000000088D8: E0701000 80024906
	s_mov_b64 exec, s[36:37]                                   // 0000000088E0: BEFE0124
	v_mov_b32_e32 v6, v58                                      // 0000000088E4: 7E0C033A
	s_mov_b64 s[60:61], 0                                      // 0000000088E8: BEBC0180
	v_readlane_b32 s82, v3, 4                                  // 0000000088EC: D2890052 00010903
	s_and_b32 s82, s82, 0xffffff                               // 0000000088F4: 8652FF52 00FFFFFF
	s_cmp_lt_u32 s82, s66                                      // 0000000088FC: BF0A4252
	s_cselect_b32 s20, s36, s60                                // 000000008900: 85143C24
	v_readlane_b32 s82, v3, 5                                  // 000000008904: D2890052 00010B03
	s_and_b32 s82, s82, 0xffffff                               // 00000000890C: 8652FF52 00FFFFFF
	s_cmp_lt_u32 s82, s66                                      // 000000008914: BF0A4252
	s_cselect_b32 s21, s36, s60                                // 000000008918: 85153C24
	s_mov_b64 exec, s[20:21]                                   // 00000000891C: BEFE0114
	buffer_store_dword v74, v6, s[8:11], 0 offen               // 000000008920: E0701000 80024A06
	s_mov_b64 exec, s[36:37]                                   // 000000008928: BEFE0124
	v_mov_b32_e32 v6, v59                                      // 00000000892C: 7E0C033B
	s_mov_b64 s[60:61], 0                                      // 000000008930: BEBC0180
	v_readlane_b32 s82, v3, 6                                  // 000000008934: D2890052 00010D03
	s_and_b32 s82, s82, 0xffffff                               // 00000000893C: 8652FF52 00FFFFFF
	s_cmp_lt_u32 s82, s66                                      // 000000008944: BF0A4252
	s_cselect_b32 s20, s36, s60                                // 000000008948: 85143C24
	v_readlane_b32 s82, v3, 7                                  // 00000000894C: D2890052 00010F03
	s_and_b32 s82, s82, 0xffffff                               // 000000008954: 8652FF52 00FFFFFF
	s_cmp_lt_u32 s82, s66                                      // 00000000895C: BF0A4252
	s_cselect_b32 s21, s36, s60                                // 000000008960: 85153C24
	s_mov_b64 exec, s[20:21]                                   // 000000008964: BEFE0114
	buffer_store_dword v75, v6, s[8:11], 0 offen               // 000000008968: E0701000 80024B06
	s_mov_b64 exec, s[36:37]                                   // 000000008970: BEFE0124
	v_mov_b32_e32 v6, v60                                      // 000000008974: 7E0C033C
	s_mov_b64 s[60:61], 0                                      // 000000008978: BEBC0180
	v_readlane_b32 s82, v3, 8                                  // 00000000897C: D2890052 00011103
	s_and_b32 s82, s82, 0xffffff                               // 000000008984: 8652FF52 00FFFFFF
	s_cmp_lt_u32 s82, s66                                      // 00000000898C: BF0A4252
	s_cselect_b32 s20, s36, s60                                // 000000008990: 85143C24
	v_readlane_b32 s82, v3, 9                                  // 000000008994: D2890052 00011303
	s_and_b32 s82, s82, 0xffffff                               // 00000000899C: 8652FF52 00FFFFFF
	s_cmp_lt_u32 s82, s66                                      // 0000000089A4: BF0A4252
	s_cselect_b32 s21, s36, s60                                // 0000000089A8: 85153C24
	s_mov_b64 exec, s[20:21]                                   // 0000000089AC: BEFE0114
	buffer_store_dword v76, v6, s[8:11], 0 offen               // 0000000089B0: E0701000 80024C06
	s_mov_b64 exec, s[36:37]                                   // 0000000089B8: BEFE0124
	v_mov_b32_e32 v6, v61                                      // 0000000089BC: 7E0C033D
	s_mov_b64 s[60:61], 0                                      // 0000000089C0: BEBC0180
	v_readlane_b32 s82, v3, 10                                 // 0000000089C4: D2890052 00011503
	s_and_b32 s82, s82, 0xffffff                               // 0000000089CC: 8652FF52 00FFFFFF
	s_cmp_lt_u32 s82, s66                                      // 0000000089D4: BF0A4252
	s_cselect_b32 s20, s36, s60                                // 0000000089D8: 85143C24
	v_readlane_b32 s82, v3, 11                                 // 0000000089DC: D2890052 00011703
	s_and_b32 s82, s82, 0xffffff                               // 0000000089E4: 8652FF52 00FFFFFF
	s_cmp_lt_u32 s82, s66                                      // 0000000089EC: BF0A4252
	s_cselect_b32 s21, s36, s60                                // 0000000089F0: 85153C24
	s_mov_b64 exec, s[20:21]                                   // 0000000089F4: BEFE0114
	buffer_store_dword v77, v6, s[8:11], 0 offen               // 0000000089F8: E0701000 80024D06
	s_mov_b64 exec, s[36:37]                                   // 000000008A00: BEFE0124
	v_mov_b32_e32 v6, v62                                      // 000000008A04: 7E0C033E
	s_mov_b64 s[60:61], 0                                      // 000000008A08: BEBC0180
	v_readlane_b32 s82, v3, 12                                 // 000000008A0C: D2890052 00011903
	s_and_b32 s82, s82, 0xffffff                               // 000000008A14: 8652FF52 00FFFFFF
	s_cmp_lt_u32 s82, s66                                      // 000000008A1C: BF0A4252
	s_cselect_b32 s20, s36, s60                                // 000000008A20: 85143C24
	v_readlane_b32 s82, v3, 13                                 // 000000008A24: D2890052 00011B03
	s_and_b32 s82, s82, 0xffffff                               // 000000008A2C: 8652FF52 00FFFFFF
	s_cmp_lt_u32 s82, s66                                      // 000000008A34: BF0A4252
	s_cselect_b32 s21, s36, s60                                // 000000008A38: 85153C24
	s_mov_b64 exec, s[20:21]                                   // 000000008A3C: BEFE0114
	buffer_store_dword v78, v6, s[8:11], 0 offen               // 000000008A40: E0701000 80024E06
	s_mov_b64 exec, s[36:37]                                   // 000000008A48: BEFE0124
	v_mov_b32_e32 v6, v63                                      // 000000008A4C: 7E0C033F
	s_mov_b64 s[60:61], 0                                      // 000000008A50: BEBC0180
	v_readlane_b32 s82, v3, 14                                 // 000000008A54: D2890052 00011D03
	s_and_b32 s82, s82, 0xffffff                               // 000000008A5C: 8652FF52 00FFFFFF
	s_cmp_lt_u32 s82, s66                                      // 000000008A64: BF0A4252
	s_cselect_b32 s20, s36, s60                                // 000000008A68: 85143C24
	v_readlane_b32 s82, v3, 15                                 // 000000008A6C: D2890052 00011F03
	s_and_b32 s82, s82, 0xffffff                               // 000000008A74: 8652FF52 00FFFFFF
	s_cmp_lt_u32 s82, s66                                      // 000000008A7C: BF0A4252
	s_cselect_b32 s21, s36, s60                                // 000000008A80: 85153C24
	s_mov_b64 exec, s[20:21]                                   // 000000008A84: BEFE0114
	buffer_store_dword v79, v6, s[8:11], 0 offen               // 000000008A88: E0701000 80024F06
	s_mov_b64 exec, s[36:37]                                   // 000000008A90: BEFE0124
	v_mov_b32_e32 v6, v64                                      // 000000008A94: 7E0C0340
	s_mov_b64 s[60:61], 0                                      // 000000008A98: BEBC0180
	v_readlane_b32 s82, v3, 16                                 // 000000008A9C: D2890052 00012103
	s_and_b32 s82, s82, 0xffffff                               // 000000008AA4: 8652FF52 00FFFFFF
	s_cmp_lt_u32 s82, s66                                      // 000000008AAC: BF0A4252
	s_cselect_b32 s20, s36, s60                                // 000000008AB0: 85143C24
	v_readlane_b32 s82, v3, 17                                 // 000000008AB4: D2890052 00012303
	s_and_b32 s82, s82, 0xffffff                               // 000000008ABC: 8652FF52 00FFFFFF
	s_cmp_lt_u32 s82, s66                                      // 000000008AC4: BF0A4252
	s_cselect_b32 s21, s36, s60                                // 000000008AC8: 85153C24
	s_mov_b64 exec, s[20:21]                                   // 000000008ACC: BEFE0114
	buffer_store_dword v80, v6, s[8:11], 0 offen               // 000000008AD0: E0701000 80025006
	s_mov_b64 exec, s[36:37]                                   // 000000008AD8: BEFE0124
	v_mov_b32_e32 v6, v65                                      // 000000008ADC: 7E0C0341
	s_mov_b64 s[60:61], 0                                      // 000000008AE0: BEBC0180
	v_readlane_b32 s82, v3, 18                                 // 000000008AE4: D2890052 00012503
	s_and_b32 s82, s82, 0xffffff                               // 000000008AEC: 8652FF52 00FFFFFF
	s_cmp_lt_u32 s82, s66                                      // 000000008AF4: BF0A4252
	s_cselect_b32 s20, s36, s60                                // 000000008AF8: 85143C24
	v_readlane_b32 s82, v3, 19                                 // 000000008AFC: D2890052 00012703
	s_and_b32 s82, s82, 0xffffff                               // 000000008B04: 8652FF52 00FFFFFF
	s_cmp_lt_u32 s82, s66                                      // 000000008B0C: BF0A4252
	s_cselect_b32 s21, s36, s60                                // 000000008B10: 85153C24
	s_mov_b64 exec, s[20:21]                                   // 000000008B14: BEFE0114
	buffer_store_dword v81, v6, s[8:11], 0 offen               // 000000008B18: E0701000 80025106
	s_mov_b64 exec, s[36:37]                                   // 000000008B20: BEFE0124
	v_mov_b32_e32 v6, v66                                      // 000000008B24: 7E0C0342
	s_mov_b64 s[60:61], 0                                      // 000000008B28: BEBC0180
	v_readlane_b32 s82, v3, 20                                 // 000000008B2C: D2890052 00012903
	s_and_b32 s82, s82, 0xffffff                               // 000000008B34: 8652FF52 00FFFFFF
	s_cmp_lt_u32 s82, s66                                      // 000000008B3C: BF0A4252
	s_cselect_b32 s20, s36, s60                                // 000000008B40: 85143C24
	v_readlane_b32 s82, v3, 21                                 // 000000008B44: D2890052 00012B03
	s_and_b32 s82, s82, 0xffffff                               // 000000008B4C: 8652FF52 00FFFFFF
	s_cmp_lt_u32 s82, s66                                      // 000000008B54: BF0A4252
	s_cselect_b32 s21, s36, s60                                // 000000008B58: 85153C24
	s_mov_b64 exec, s[20:21]                                   // 000000008B5C: BEFE0114
	buffer_store_dword v82, v6, s[8:11], 0 offen               // 000000008B60: E0701000 80025206
	s_mov_b64 exec, s[36:37]                                   // 000000008B68: BEFE0124
	v_mov_b32_e32 v6, v67                                      // 000000008B6C: 7E0C0343
	s_mov_b64 s[60:61], 0                                      // 000000008B70: BEBC0180
	v_readlane_b32 s82, v3, 22                                 // 000000008B74: D2890052 00012D03
	s_and_b32 s82, s82, 0xffffff                               // 000000008B7C: 8652FF52 00FFFFFF
	s_cmp_lt_u32 s82, s66                                      // 000000008B84: BF0A4252
	s_cselect_b32 s20, s36, s60                                // 000000008B88: 85143C24
	v_readlane_b32 s82, v3, 23                                 // 000000008B8C: D2890052 00012F03
	s_and_b32 s82, s82, 0xffffff                               // 000000008B94: 8652FF52 00FFFFFF
	s_cmp_lt_u32 s82, s66                                      // 000000008B9C: BF0A4252
	s_cselect_b32 s21, s36, s60                                // 000000008BA0: 85153C24
	s_mov_b64 exec, s[20:21]                                   // 000000008BA4: BEFE0114
	buffer_store_dword v83, v6, s[8:11], 0 offen               // 000000008BA8: E0701000 80025306
	s_mov_b64 exec, s[36:37]                                   // 000000008BB0: BEFE0124
	v_mov_b32_e32 v6, v68                                      // 000000008BB4: 7E0C0344
	s_mov_b64 s[60:61], 0                                      // 000000008BB8: BEBC0180
	v_readlane_b32 s82, v3, 24                                 // 000000008BBC: D2890052 00013103
	s_and_b32 s82, s82, 0xffffff                               // 000000008BC4: 8652FF52 00FFFFFF
	s_cmp_lt_u32 s82, s66                                      // 000000008BCC: BF0A4252
	s_cselect_b32 s20, s36, s60                                // 000000008BD0: 85143C24
	v_readlane_b32 s82, v3, 25                                 // 000000008BD4: D2890052 00013303
	s_and_b32 s82, s82, 0xffffff                               // 000000008BDC: 8652FF52 00FFFFFF
	s_cmp_lt_u32 s82, s66                                      // 000000008BE4: BF0A4252
	s_cselect_b32 s21, s36, s60                                // 000000008BE8: 85153C24
	s_mov_b64 exec, s[20:21]                                   // 000000008BEC: BEFE0114
	buffer_store_dword v84, v6, s[8:11], 0 offen               // 000000008BF0: E0701000 80025406
	s_mov_b64 exec, s[36:37]                                   // 000000008BF8: BEFE0124
	v_mov_b32_e32 v6, v69                                      // 000000008BFC: 7E0C0345
	s_mov_b64 s[60:61], 0                                      // 000000008C00: BEBC0180
	v_readlane_b32 s82, v3, 26                                 // 000000008C04: D2890052 00013503
	s_and_b32 s82, s82, 0xffffff                               // 000000008C0C: 8652FF52 00FFFFFF
	s_cmp_lt_u32 s82, s66                                      // 000000008C14: BF0A4252
	s_cselect_b32 s20, s36, s60                                // 000000008C18: 85143C24
	v_readlane_b32 s82, v3, 27                                 // 000000008C1C: D2890052 00013703
	s_and_b32 s82, s82, 0xffffff                               // 000000008C24: 8652FF52 00FFFFFF
	s_cmp_lt_u32 s82, s66                                      // 000000008C2C: BF0A4252
	s_cselect_b32 s21, s36, s60                                // 000000008C30: 85153C24
	s_mov_b64 exec, s[20:21]                                   // 000000008C34: BEFE0114
	buffer_store_dword v85, v6, s[8:11], 0 offen               // 000000008C38: E0701000 80025506
	s_mov_b64 exec, s[36:37]                                   // 000000008C40: BEFE0124
	s_branch label_1E8B                                        // 000000008C44: BF8205F6

0000000000008c48 <label_1895>:
	ds_write_b64 v20, v[72:73]                                 // 000000008C48: D89A0000 00004814
	ds_write_b64 v20, v[76:77] offset:2176                     // 000000008C50: D89A0880 00004C14
	ds_write_b64 v20, v[80:81] offset:4352                     // 000000008C58: D89A1100 00005014
	ds_write_b64 v20, v[84:85] offset:6528                     // 000000008C60: D89A1980 00005414
	ds_write_b64 v20, v[88:89] offset:8704                     // 000000008C68: D89A2200 00005814
	ds_write_b64 v20, v[92:93] offset:10880                    // 000000008C70: D89A2A80 00005C14
	ds_write_b64 v20, v[96:97] offset:13056                    // 000000008C78: D89A3300 00006014
	v_lshrrev_b32_e32 v4, 5, v0                                // 000000008C80: 20080085
	v_xor_b32_e32 v5, 1, v4                                    // 000000008C84: 2A0A0881
	s_mul_i32 s60, s65, 2                                      // 000000008C88: 923C8241
	s_cmp_eq_u32 s88, 0                                        // 000000008C8C: BF068058
	s_cselect_b32 s61, 1, 4                                    // 000000008C90: 853D8481
	s_mul_i32 s60, s61, s60                                    // 000000008C94: 923C3C3D
	v_readlane_b32 s82, v3, 0                                  // 000000008C98: D2890052 00010103
	s_lshr_b32 s61, s82, 24                                    // 000000008CA0: 8F3D9852
	s_and_b32 s82, s82, 0xffffff                               // 000000008CA4: 8652FF52 00FFFFFF
	s_mul_i32 s82, s82, s71                                    // 000000008CAC: 92524752
	s_mul_i32 s61, s60, s61                                    // 000000008CB0: 923D3D3C
	s_add_u32 s82, s82, s61                                    // 000000008CB4: 80523D52
	v_mul_lo_u32 v6, v5, s82                                   // 000000008CB8: D2850006 0000A505
	v_readlane_b32 s82, v3, 1                                  // 000000008CC0: D2890052 00010303
	s_lshr_b32 s61, s82, 24                                    // 000000008CC8: 8F3D9852
	s_and_b32 s82, s82, 0xffffff                               // 000000008CCC: 8652FF52 00FFFFFF
	s_mul_i32 s82, s82, s71                                    // 000000008CD4: 92524752
	s_mul_i32 s61, s60, s61                                    // 000000008CD8: 923D3D3C
	s_add_u32 s82, s82, s61                                    // 000000008CDC: 80523D52
	v_mul_lo_u32 v7, v4, s82                                   // 000000008CE0: D2850007 0000A504
	v_add_u32_e32 v56, v6, v7                                  // 000000008CE8: 68700F06
	v_readlane_b32 s82, v3, 2                                  // 000000008CEC: D2890052 00010503
	s_lshr_b32 s61, s82, 24                                    // 000000008CF4: 8F3D9852
	s_and_b32 s82, s82, 0xffffff                               // 000000008CF8: 8652FF52 00FFFFFF
	s_mul_i32 s82, s82, s71                                    // 000000008D00: 92524752
	s_mul_i32 s61, s60, s61                                    // 000000008D04: 923D3D3C
	s_add_u32 s82, s82, s61                                    // 000000008D08: 80523D52
	v_mul_lo_u32 v6, v5, s82                                   // 000000008D0C: D2850006 0000A505
	v_readlane_b32 s82, v3, 3                                  // 000000008D14: D2890052 00010703
	s_lshr_b32 s61, s82, 24                                    // 000000008D1C: 8F3D9852
	s_and_b32 s82, s82, 0xffffff                               // 000000008D20: 8652FF52 00FFFFFF
	s_mul_i32 s82, s82, s71                                    // 000000008D28: 92524752
	s_mul_i32 s61, s60, s61                                    // 000000008D2C: 923D3D3C
	s_add_u32 s82, s82, s61                                    // 000000008D30: 80523D52
	v_mul_lo_u32 v7, v4, s82                                   // 000000008D34: D2850007 0000A504
	v_add_u32_e32 v57, v6, v7                                  // 000000008D3C: 68720F06
	v_readlane_b32 s82, v3, 4                                  // 000000008D40: D2890052 00010903
	s_lshr_b32 s61, s82, 24                                    // 000000008D48: 8F3D9852
	s_and_b32 s82, s82, 0xffffff                               // 000000008D4C: 8652FF52 00FFFFFF
	s_mul_i32 s82, s82, s71                                    // 000000008D54: 92524752
	s_mul_i32 s61, s60, s61                                    // 000000008D58: 923D3D3C
	s_add_u32 s82, s82, s61                                    // 000000008D5C: 80523D52
	v_mul_lo_u32 v6, v5, s82                                   // 000000008D60: D2850006 0000A505
	v_readlane_b32 s82, v3, 5                                  // 000000008D68: D2890052 00010B03
	s_lshr_b32 s61, s82, 24                                    // 000000008D70: 8F3D9852
	s_and_b32 s82, s82, 0xffffff                               // 000000008D74: 8652FF52 00FFFFFF
	s_mul_i32 s82, s82, s71                                    // 000000008D7C: 92524752
	s_mul_i32 s61, s60, s61                                    // 000000008D80: 923D3D3C
	s_add_u32 s82, s82, s61                                    // 000000008D84: 80523D52
	v_mul_lo_u32 v7, v4, s82                                   // 000000008D88: D2850007 0000A504
	v_add_u32_e32 v58, v6, v7                                  // 000000008D90: 68740F06
	v_readlane_b32 s82, v3, 6                                  // 000000008D94: D2890052 00010D03
	s_lshr_b32 s61, s82, 24                                    // 000000008D9C: 8F3D9852
	s_and_b32 s82, s82, 0xffffff                               // 000000008DA0: 8652FF52 00FFFFFF
	s_mul_i32 s82, s82, s71                                    // 000000008DA8: 92524752
	s_mul_i32 s61, s60, s61                                    // 000000008DAC: 923D3D3C
	s_add_u32 s82, s82, s61                                    // 000000008DB0: 80523D52
	v_mul_lo_u32 v6, v5, s82                                   // 000000008DB4: D2850006 0000A505
	v_readlane_b32 s82, v3, 7                                  // 000000008DBC: D2890052 00010F03
	s_lshr_b32 s61, s82, 24                                    // 000000008DC4: 8F3D9852
	s_and_b32 s82, s82, 0xffffff                               // 000000008DC8: 8652FF52 00FFFFFF
	s_mul_i32 s82, s82, s71                                    // 000000008DD0: 92524752
	s_mul_i32 s61, s60, s61                                    // 000000008DD4: 923D3D3C
	s_add_u32 s82, s82, s61                                    // 000000008DD8: 80523D52
	v_mul_lo_u32 v7, v4, s82                                   // 000000008DDC: D2850007 0000A504
	v_add_u32_e32 v59, v6, v7                                  // 000000008DE4: 68760F06
	v_readlane_b32 s82, v3, 8                                  // 000000008DE8: D2890052 00011103
	s_lshr_b32 s61, s82, 24                                    // 000000008DF0: 8F3D9852
	s_and_b32 s82, s82, 0xffffff                               // 000000008DF4: 8652FF52 00FFFFFF
	s_mul_i32 s82, s82, s71                                    // 000000008DFC: 92524752
	s_mul_i32 s61, s60, s61                                    // 000000008E00: 923D3D3C
	s_add_u32 s82, s82, s61                                    // 000000008E04: 80523D52
	v_mul_lo_u32 v6, v5, s82                                   // 000000008E08: D2850006 0000A505
	v_readlane_b32 s82, v3, 9                                  // 000000008E10: D2890052 00011303
	s_lshr_b32 s61, s82, 24                                    // 000000008E18: 8F3D9852
	s_and_b32 s82, s82, 0xffffff                               // 000000008E1C: 8652FF52 00FFFFFF
	s_mul_i32 s82, s82, s71                                    // 000000008E24: 92524752
	s_mul_i32 s61, s60, s61                                    // 000000008E28: 923D3D3C
	s_add_u32 s82, s82, s61                                    // 000000008E2C: 80523D52
	v_mul_lo_u32 v7, v4, s82                                   // 000000008E30: D2850007 0000A504
	v_add_u32_e32 v60, v6, v7                                  // 000000008E38: 68780F06
	v_readlane_b32 s82, v3, 10                                 // 000000008E3C: D2890052 00011503
	s_lshr_b32 s61, s82, 24                                    // 000000008E44: 8F3D9852
	s_and_b32 s82, s82, 0xffffff                               // 000000008E48: 8652FF52 00FFFFFF
	s_mul_i32 s82, s82, s71                                    // 000000008E50: 92524752
	s_mul_i32 s61, s60, s61                                    // 000000008E54: 923D3D3C
	s_add_u32 s82, s82, s61                                    // 000000008E58: 80523D52
	v_mul_lo_u32 v6, v5, s82                                   // 000000008E5C: D2850006 0000A505
	v_readlane_b32 s82, v3, 11                                 // 000000008E64: D2890052 00011703
	s_lshr_b32 s61, s82, 24                                    // 000000008E6C: 8F3D9852
	s_and_b32 s82, s82, 0xffffff                               // 000000008E70: 8652FF52 00FFFFFF
	s_mul_i32 s82, s82, s71                                    // 000000008E78: 92524752
	s_mul_i32 s61, s60, s61                                    // 000000008E7C: 923D3D3C
	s_add_u32 s82, s82, s61                                    // 000000008E80: 80523D52
	v_mul_lo_u32 v7, v4, s82                                   // 000000008E84: D2850007 0000A504
	v_add_u32_e32 v61, v6, v7                                  // 000000008E8C: 687A0F06
	v_readlane_b32 s82, v3, 12                                 // 000000008E90: D2890052 00011903
	s_lshr_b32 s61, s82, 24                                    // 000000008E98: 8F3D9852
	s_and_b32 s82, s82, 0xffffff                               // 000000008E9C: 8652FF52 00FFFFFF
	s_mul_i32 s82, s82, s71                                    // 000000008EA4: 92524752
	s_mul_i32 s61, s60, s61                                    // 000000008EA8: 923D3D3C
	s_add_u32 s82, s82, s61                                    // 000000008EAC: 80523D52
	v_mul_lo_u32 v6, v5, s82                                   // 000000008EB0: D2850006 0000A505
	v_readlane_b32 s82, v3, 13                                 // 000000008EB8: D2890052 00011B03
	s_lshr_b32 s61, s82, 24                                    // 000000008EC0: 8F3D9852
	s_and_b32 s82, s82, 0xffffff                               // 000000008EC4: 8652FF52 00FFFFFF
	s_mul_i32 s82, s82, s71                                    // 000000008ECC: 92524752
	s_mul_i32 s61, s60, s61                                    // 000000008ED0: 923D3D3C
	s_add_u32 s82, s82, s61                                    // 000000008ED4: 80523D52
	v_mul_lo_u32 v7, v4, s82                                   // 000000008ED8: D2850007 0000A504
	v_add_u32_e32 v62, v6, v7                                  // 000000008EE0: 687C0F06
	v_readlane_b32 s82, v3, 14                                 // 000000008EE4: D2890052 00011D03
	s_lshr_b32 s61, s82, 24                                    // 000000008EEC: 8F3D9852
	s_and_b32 s82, s82, 0xffffff                               // 000000008EF0: 8652FF52 00FFFFFF
	s_mul_i32 s82, s82, s71                                    // 000000008EF8: 92524752
	s_mul_i32 s61, s60, s61                                    // 000000008EFC: 923D3D3C
	s_add_u32 s82, s82, s61                                    // 000000008F00: 80523D52
	v_mul_lo_u32 v6, v5, s82                                   // 000000008F04: D2850006 0000A505
	v_readlane_b32 s82, v3, 15                                 // 000000008F0C: D2890052 00011F03
	s_lshr_b32 s61, s82, 24                                    // 000000008F14: 8F3D9852
	s_and_b32 s82, s82, 0xffffff                               // 000000008F18: 8652FF52 00FFFFFF
	s_mul_i32 s82, s82, s71                                    // 000000008F20: 92524752
	s_mul_i32 s61, s60, s61                                    // 000000008F24: 923D3D3C
	s_add_u32 s82, s82, s61                                    // 000000008F28: 80523D52
	v_mul_lo_u32 v7, v4, s82                                   // 000000008F2C: D2850007 0000A504
	v_add_u32_e32 v63, v6, v7                                  // 000000008F34: 687E0F06
	v_readlane_b32 s82, v3, 16                                 // 000000008F38: D2890052 00012103
	s_lshr_b32 s61, s82, 24                                    // 000000008F40: 8F3D9852
	s_and_b32 s82, s82, 0xffffff                               // 000000008F44: 8652FF52 00FFFFFF
	s_mul_i32 s82, s82, s71                                    // 000000008F4C: 92524752
	s_mul_i32 s61, s60, s61                                    // 000000008F50: 923D3D3C
	s_add_u32 s82, s82, s61                                    // 000000008F54: 80523D52
	v_mul_lo_u32 v6, v5, s82                                   // 000000008F58: D2850006 0000A505
	v_readlane_b32 s82, v3, 17                                 // 000000008F60: D2890052 00012303
	s_lshr_b32 s61, s82, 24                                    // 000000008F68: 8F3D9852
	s_and_b32 s82, s82, 0xffffff                               // 000000008F6C: 8652FF52 00FFFFFF
	s_mul_i32 s82, s82, s71                                    // 000000008F74: 92524752
	s_mul_i32 s61, s60, s61                                    // 000000008F78: 923D3D3C
	s_add_u32 s82, s82, s61                                    // 000000008F7C: 80523D52
	v_mul_lo_u32 v7, v4, s82                                   // 000000008F80: D2850007 0000A504
	v_add_u32_e32 v64, v6, v7                                  // 000000008F88: 68800F06
	v_readlane_b32 s82, v3, 18                                 // 000000008F8C: D2890052 00012503
	s_lshr_b32 s61, s82, 24                                    // 000000008F94: 8F3D9852
	s_and_b32 s82, s82, 0xffffff                               // 000000008F98: 8652FF52 00FFFFFF
	s_mul_i32 s82, s82, s71                                    // 000000008FA0: 92524752
	s_mul_i32 s61, s60, s61                                    // 000000008FA4: 923D3D3C
	s_add_u32 s82, s82, s61                                    // 000000008FA8: 80523D52
	v_mul_lo_u32 v6, v5, s82                                   // 000000008FAC: D2850006 0000A505
	v_readlane_b32 s82, v3, 19                                 // 000000008FB4: D2890052 00012703
	s_lshr_b32 s61, s82, 24                                    // 000000008FBC: 8F3D9852
	s_and_b32 s82, s82, 0xffffff                               // 000000008FC0: 8652FF52 00FFFFFF
	s_mul_i32 s82, s82, s71                                    // 000000008FC8: 92524752
	s_mul_i32 s61, s60, s61                                    // 000000008FCC: 923D3D3C
	s_add_u32 s82, s82, s61                                    // 000000008FD0: 80523D52
	v_mul_lo_u32 v7, v4, s82                                   // 000000008FD4: D2850007 0000A504
	v_add_u32_e32 v65, v6, v7                                  // 000000008FDC: 68820F06
	v_readlane_b32 s82, v3, 20                                 // 000000008FE0: D2890052 00012903
	s_lshr_b32 s61, s82, 24                                    // 000000008FE8: 8F3D9852
	s_and_b32 s82, s82, 0xffffff                               // 000000008FEC: 8652FF52 00FFFFFF
	s_mul_i32 s82, s82, s71                                    // 000000008FF4: 92524752
	s_mul_i32 s61, s60, s61                                    // 000000008FF8: 923D3D3C
	s_add_u32 s82, s82, s61                                    // 000000008FFC: 80523D52
	v_mul_lo_u32 v6, v5, s82                                   // 000000009000: D2850006 0000A505
	v_readlane_b32 s82, v3, 21                                 // 000000009008: D2890052 00012B03
	s_lshr_b32 s61, s82, 24                                    // 000000009010: 8F3D9852
	s_and_b32 s82, s82, 0xffffff                               // 000000009014: 8652FF52 00FFFFFF
	s_mul_i32 s82, s82, s71                                    // 00000000901C: 92524752
	s_mul_i32 s61, s60, s61                                    // 000000009020: 923D3D3C
	s_add_u32 s82, s82, s61                                    // 000000009024: 80523D52
	v_mul_lo_u32 v7, v4, s82                                   // 000000009028: D2850007 0000A504
	v_add_u32_e32 v66, v6, v7                                  // 000000009030: 68840F06
	v_readlane_b32 s82, v3, 22                                 // 000000009034: D2890052 00012D03
	s_lshr_b32 s61, s82, 24                                    // 00000000903C: 8F3D9852
	s_and_b32 s82, s82, 0xffffff                               // 000000009040: 8652FF52 00FFFFFF
	s_mul_i32 s82, s82, s71                                    // 000000009048: 92524752
	s_mul_i32 s61, s60, s61                                    // 00000000904C: 923D3D3C
	s_add_u32 s82, s82, s61                                    // 000000009050: 80523D52
	v_mul_lo_u32 v6, v5, s82                                   // 000000009054: D2850006 0000A505
	v_readlane_b32 s82, v3, 23                                 // 00000000905C: D2890052 00012F03
	s_lshr_b32 s61, s82, 24                                    // 000000009064: 8F3D9852
	s_and_b32 s82, s82, 0xffffff                               // 000000009068: 8652FF52 00FFFFFF
	s_mul_i32 s82, s82, s71                                    // 000000009070: 92524752
	s_mul_i32 s61, s60, s61                                    // 000000009074: 923D3D3C
	s_add_u32 s82, s82, s61                                    // 000000009078: 80523D52
	v_mul_lo_u32 v7, v4, s82                                   // 00000000907C: D2850007 0000A504
	v_add_u32_e32 v67, v6, v7                                  // 000000009084: 68860F06
	v_readlane_b32 s82, v3, 24                                 // 000000009088: D2890052 00013103
	s_lshr_b32 s61, s82, 24                                    // 000000009090: 8F3D9852
	s_and_b32 s82, s82, 0xffffff                               // 000000009094: 8652FF52 00FFFFFF
	s_mul_i32 s82, s82, s71                                    // 00000000909C: 92524752
	s_mul_i32 s61, s60, s61                                    // 0000000090A0: 923D3D3C
	s_add_u32 s82, s82, s61                                    // 0000000090A4: 80523D52
	v_mul_lo_u32 v6, v5, s82                                   // 0000000090A8: D2850006 0000A505
	v_readlane_b32 s82, v3, 25                                 // 0000000090B0: D2890052 00013303
	s_lshr_b32 s61, s82, 24                                    // 0000000090B8: 8F3D9852
	s_and_b32 s82, s82, 0xffffff                               // 0000000090BC: 8652FF52 00FFFFFF
	s_mul_i32 s82, s82, s71                                    // 0000000090C4: 92524752
	s_mul_i32 s61, s60, s61                                    // 0000000090C8: 923D3D3C
	s_add_u32 s82, s82, s61                                    // 0000000090CC: 80523D52
	v_mul_lo_u32 v7, v4, s82                                   // 0000000090D0: D2850007 0000A504
	v_add_u32_e32 v68, v6, v7                                  // 0000000090D8: 68880F06
	v_readlane_b32 s82, v3, 26                                 // 0000000090DC: D2890052 00013503
	s_lshr_b32 s61, s82, 24                                    // 0000000090E4: 8F3D9852
	s_and_b32 s82, s82, 0xffffff                               // 0000000090E8: 8652FF52 00FFFFFF
	s_mul_i32 s82, s82, s71                                    // 0000000090F0: 92524752
	s_mul_i32 s61, s60, s61                                    // 0000000090F4: 923D3D3C
	s_add_u32 s82, s82, s61                                    // 0000000090F8: 80523D52
	v_mul_lo_u32 v6, v5, s82                                   // 0000000090FC: D2850006 0000A505
	v_readlane_b32 s82, v3, 27                                 // 000000009104: D2890052 00013703
	s_lshr_b32 s61, s82, 24                                    // 00000000910C: 8F3D9852
	s_and_b32 s82, s82, 0xffffff                               // 000000009110: 8652FF52 00FFFFFF
	s_mul_i32 s82, s82, s71                                    // 000000009118: 92524752
	s_mul_i32 s61, s60, s61                                    // 00000000911C: 923D3D3C
	s_add_u32 s82, s82, s61                                    // 000000009120: 80523D52
	v_mul_lo_u32 v7, v4, s82                                   // 000000009124: D2850007 0000A504
	v_add_u32_e32 v69, v6, v7                                  // 00000000912C: 688A0F06
	v_and_b32_e32 v4, 31, v0                                   // 000000009130: 2608009F
	v_lshrrev_b32_e32 v4, 1, v4                                // 000000009134: 20080881
	s_cmp_eq_u32 s88, 0                                        // 000000009138: BF068058
	s_cselect_b32 s61, 2, 4                                    // 00000000913C: 853D8482
	v_mul_lo_u32 v4, v4, s61                                   // 000000009140: D2850004 00007B04
	v_and_b32_e64 v5, v0, 1                                    // 000000009148: D1130005 00010300
	v_add_u32_e32 v4, v4, v5                                   // 000000009150: 68080B04
	v_lshlrev_b32_e32 v4, 2, v4                                // 000000009154: 24080882
	v_add_u32_e32 v56, v56, v4                                 // 000000009158: 68700938
	v_add_u32_e32 v57, v57, v4                                 // 00000000915C: 68720939
	v_add_u32_e32 v58, v58, v4                                 // 000000009160: 6874093A
	v_add_u32_e32 v59, v59, v4                                 // 000000009164: 6876093B
	v_add_u32_e32 v60, v60, v4                                 // 000000009168: 6878093C
	v_add_u32_e32 v61, v61, v4                                 // 00000000916C: 687A093D
	v_add_u32_e32 v62, v62, v4                                 // 000000009170: 687C093E
	v_add_u32_e32 v63, v63, v4                                 // 000000009174: 687E093F
	v_add_u32_e32 v64, v64, v4                                 // 000000009178: 68800940
	v_add_u32_e32 v65, v65, v4                                 // 00000000917C: 68820941
	v_add_u32_e32 v66, v66, v4                                 // 000000009180: 68840942
	v_add_u32_e32 v67, v67, v4                                 // 000000009184: 68860943
	;; [unrolled: 1-line block ×3, first 2 shown]
	v_add_u32_e32 v69, v69, v4                                 // 00000000918C: 688A0945
	s_waitcnt lgkmcnt(0)                                       // 000000009190: BF8CC07F
	s_barrier                                                  // 000000009194: BF8A0000
	ds_read_b32 v72, v21                                       // 000000009198: D86C0000 48000015
	ds_read_b32 v73, v21 offset:64                             // 0000000091A0: D86C0040 49000015
	ds_read_b32 v76, v21 offset:2176                           // 0000000091A8: D86C0880 4C000015
	ds_read_b32 v77, v21 offset:2240                           // 0000000091B0: D86C08C0 4D000015
	ds_read_b32 v80, v21 offset:4352                           // 0000000091B8: D86C1100 50000015
	ds_read_b32 v81, v21 offset:4416                           // 0000000091C0: D86C1140 51000015
	ds_read_b32 v84, v21 offset:6528                           // 0000000091C8: D86C1980 54000015
	ds_read_b32 v85, v21 offset:6592                           // 0000000091D0: D86C19C0 55000015
	ds_read_b32 v88, v21 offset:8704                           // 0000000091D8: D86C2200 58000015
	ds_read_b32 v89, v21 offset:8768                           // 0000000091E0: D86C2240 59000015
	ds_read_b32 v92, v21 offset:10880                          // 0000000091E8: D86C2A80 5C000015
	ds_read_b32 v93, v21 offset:10944                          // 0000000091F0: D86C2AC0 5D000015
	ds_read_b32 v96, v21 offset:13056                          // 0000000091F8: D86C3300 60000015
	ds_read_b32 v97, v21 offset:13120                          // 000000009200: D86C3340 61000015
	s_waitcnt lgkmcnt(0)                                       // 000000009208: BF8CC07F
	s_mov_b32 s36, -1                                          // 00000000920C: BEA400C1
	s_mov_b32 s37, -1                                          // 000000009210: BEA500C1
	v_mov_b32_e32 v7, 0                                        // 000000009214: 7E0E0280
	s_mov_b64 exec, s[36:37]                                   // 000000009218: BEFE0124
	v_mov_b32_e32 v6, v56                                      // 00000000921C: 7E0C0338
	s_mov_b64 s[60:61], 0                                      // 000000009220: BEBC0180
	v_readlane_b32 s82, v3, 0                                  // 000000009224: D2890052 00010103
	s_and_b32 s82, s82, 0xffffff                               // 00000000922C: 8652FF52 00FFFFFF
	s_cmp_lt_u32 s82, s66                                      // 000000009234: BF0A4252
	s_cselect_b32 s20, s36, s60                                // 000000009238: 85143C24
	v_readlane_b32 s82, v3, 1                                  // 00000000923C: D2890052 00010303
	s_and_b32 s82, s82, 0xffffff                               // 000000009244: 8652FF52 00FFFFFF
	s_cmp_lt_u32 s82, s66                                      // 00000000924C: BF0A4252
	s_cselect_b32 s21, s36, s60                                // 000000009250: 85153C24
	s_mov_b64 exec, s[20:21]                                   // 000000009254: BEFE0114
	global_atomic_add_f32 v6, v72, s[8:9]                      // 000000009258: DD348000 00084806
	s_mov_b64 exec, s[36:37]                                   // 000000009260: BEFE0124
	v_mov_b32_e32 v6, v57                                      // 000000009264: 7E0C0339
	s_mov_b64 s[60:61], 0                                      // 000000009268: BEBC0180
	v_readlane_b32 s82, v3, 2                                  // 00000000926C: D2890052 00010503
	s_and_b32 s82, s82, 0xffffff                               // 000000009274: 8652FF52 00FFFFFF
	s_cmp_lt_u32 s82, s66                                      // 00000000927C: BF0A4252
	s_cselect_b32 s20, s36, s60                                // 000000009280: 85143C24
	v_readlane_b32 s82, v3, 3                                  // 000000009284: D2890052 00010703
	s_and_b32 s82, s82, 0xffffff                               // 00000000928C: 8652FF52 00FFFFFF
	s_cmp_lt_u32 s82, s66                                      // 000000009294: BF0A4252
	s_cselect_b32 s21, s36, s60                                // 000000009298: 85153C24
	s_mov_b64 exec, s[20:21]                                   // 00000000929C: BEFE0114
	global_atomic_add_f32 v6, v73, s[8:9]                      // 0000000092A0: DD348000 00084906
	s_mov_b64 exec, s[36:37]                                   // 0000000092A8: BEFE0124
	v_mov_b32_e32 v6, v58                                      // 0000000092AC: 7E0C033A
	s_mov_b64 s[60:61], 0                                      // 0000000092B0: BEBC0180
	v_readlane_b32 s82, v3, 4                                  // 0000000092B4: D2890052 00010903
	s_and_b32 s82, s82, 0xffffff                               // 0000000092BC: 8652FF52 00FFFFFF
	s_cmp_lt_u32 s82, s66                                      // 0000000092C4: BF0A4252
	s_cselect_b32 s20, s36, s60                                // 0000000092C8: 85143C24
	v_readlane_b32 s82, v3, 5                                  // 0000000092CC: D2890052 00010B03
	s_and_b32 s82, s82, 0xffffff                               // 0000000092D4: 8652FF52 00FFFFFF
	s_cmp_lt_u32 s82, s66                                      // 0000000092DC: BF0A4252
	s_cselect_b32 s21, s36, s60                                // 0000000092E0: 85153C24
	s_mov_b64 exec, s[20:21]                                   // 0000000092E4: BEFE0114
	global_atomic_add_f32 v6, v76, s[8:9]                      // 0000000092E8: DD348000 00084C06
	s_mov_b64 exec, s[36:37]                                   // 0000000092F0: BEFE0124
	v_mov_b32_e32 v6, v59                                      // 0000000092F4: 7E0C033B
	s_mov_b64 s[60:61], 0                                      // 0000000092F8: BEBC0180
	v_readlane_b32 s82, v3, 6                                  // 0000000092FC: D2890052 00010D03
	s_and_b32 s82, s82, 0xffffff                               // 000000009304: 8652FF52 00FFFFFF
	s_cmp_lt_u32 s82, s66                                      // 00000000930C: BF0A4252
	s_cselect_b32 s20, s36, s60                                // 000000009310: 85143C24
	v_readlane_b32 s82, v3, 7                                  // 000000009314: D2890052 00010F03
	s_and_b32 s82, s82, 0xffffff                               // 00000000931C: 8652FF52 00FFFFFF
	s_cmp_lt_u32 s82, s66                                      // 000000009324: BF0A4252
	s_cselect_b32 s21, s36, s60                                // 000000009328: 85153C24
	s_mov_b64 exec, s[20:21]                                   // 00000000932C: BEFE0114
	global_atomic_add_f32 v6, v77, s[8:9]                      // 000000009330: DD348000 00084D06
	s_mov_b64 exec, s[36:37]                                   // 000000009338: BEFE0124
	v_mov_b32_e32 v6, v60                                      // 00000000933C: 7E0C033C
	s_mov_b64 s[60:61], 0                                      // 000000009340: BEBC0180
	v_readlane_b32 s82, v3, 8                                  // 000000009344: D2890052 00011103
	s_and_b32 s82, s82, 0xffffff                               // 00000000934C: 8652FF52 00FFFFFF
	s_cmp_lt_u32 s82, s66                                      // 000000009354: BF0A4252
	s_cselect_b32 s20, s36, s60                                // 000000009358: 85143C24
	v_readlane_b32 s82, v3, 9                                  // 00000000935C: D2890052 00011303
	s_and_b32 s82, s82, 0xffffff                               // 000000009364: 8652FF52 00FFFFFF
	s_cmp_lt_u32 s82, s66                                      // 00000000936C: BF0A4252
	s_cselect_b32 s21, s36, s60                                // 000000009370: 85153C24
	s_mov_b64 exec, s[20:21]                                   // 000000009374: BEFE0114
	global_atomic_add_f32 v6, v80, s[8:9]                      // 000000009378: DD348000 00085006
	s_mov_b64 exec, s[36:37]                                   // 000000009380: BEFE0124
	v_mov_b32_e32 v6, v61                                      // 000000009384: 7E0C033D
	s_mov_b64 s[60:61], 0                                      // 000000009388: BEBC0180
	v_readlane_b32 s82, v3, 10                                 // 00000000938C: D2890052 00011503
	s_and_b32 s82, s82, 0xffffff                               // 000000009394: 8652FF52 00FFFFFF
	s_cmp_lt_u32 s82, s66                                      // 00000000939C: BF0A4252
	s_cselect_b32 s20, s36, s60                                // 0000000093A0: 85143C24
	v_readlane_b32 s82, v3, 11                                 // 0000000093A4: D2890052 00011703
	s_and_b32 s82, s82, 0xffffff                               // 0000000093AC: 8652FF52 00FFFFFF
	s_cmp_lt_u32 s82, s66                                      // 0000000093B4: BF0A4252
	s_cselect_b32 s21, s36, s60                                // 0000000093B8: 85153C24
	s_mov_b64 exec, s[20:21]                                   // 0000000093BC: BEFE0114
	global_atomic_add_f32 v6, v81, s[8:9]                      // 0000000093C0: DD348000 00085106
	s_mov_b64 exec, s[36:37]                                   // 0000000093C8: BEFE0124
	v_mov_b32_e32 v6, v62                                      // 0000000093CC: 7E0C033E
	s_mov_b64 s[60:61], 0                                      // 0000000093D0: BEBC0180
	v_readlane_b32 s82, v3, 12                                 // 0000000093D4: D2890052 00011903
	s_and_b32 s82, s82, 0xffffff                               // 0000000093DC: 8652FF52 00FFFFFF
	s_cmp_lt_u32 s82, s66                                      // 0000000093E4: BF0A4252
	s_cselect_b32 s20, s36, s60                                // 0000000093E8: 85143C24
	v_readlane_b32 s82, v3, 13                                 // 0000000093EC: D2890052 00011B03
	s_and_b32 s82, s82, 0xffffff                               // 0000000093F4: 8652FF52 00FFFFFF
	s_cmp_lt_u32 s82, s66                                      // 0000000093FC: BF0A4252
	s_cselect_b32 s21, s36, s60                                // 000000009400: 85153C24
	s_mov_b64 exec, s[20:21]                                   // 000000009404: BEFE0114
	global_atomic_add_f32 v6, v84, s[8:9]                      // 000000009408: DD348000 00085406
	s_mov_b64 exec, s[36:37]                                   // 000000009410: BEFE0124
	v_mov_b32_e32 v6, v63                                      // 000000009414: 7E0C033F
	s_mov_b64 s[60:61], 0                                      // 000000009418: BEBC0180
	v_readlane_b32 s82, v3, 14                                 // 00000000941C: D2890052 00011D03
	s_and_b32 s82, s82, 0xffffff                               // 000000009424: 8652FF52 00FFFFFF
	s_cmp_lt_u32 s82, s66                                      // 00000000942C: BF0A4252
	s_cselect_b32 s20, s36, s60                                // 000000009430: 85143C24
	v_readlane_b32 s82, v3, 15                                 // 000000009434: D2890052 00011F03
	s_and_b32 s82, s82, 0xffffff                               // 00000000943C: 8652FF52 00FFFFFF
	s_cmp_lt_u32 s82, s66                                      // 000000009444: BF0A4252
	s_cselect_b32 s21, s36, s60                                // 000000009448: 85153C24
	s_mov_b64 exec, s[20:21]                                   // 00000000944C: BEFE0114
	global_atomic_add_f32 v6, v85, s[8:9]                      // 000000009450: DD348000 00085506
	s_mov_b64 exec, s[36:37]                                   // 000000009458: BEFE0124
	v_mov_b32_e32 v6, v64                                      // 00000000945C: 7E0C0340
	s_mov_b64 s[60:61], 0                                      // 000000009460: BEBC0180
	v_readlane_b32 s82, v3, 16                                 // 000000009464: D2890052 00012103
	s_and_b32 s82, s82, 0xffffff                               // 00000000946C: 8652FF52 00FFFFFF
	s_cmp_lt_u32 s82, s66                                      // 000000009474: BF0A4252
	s_cselect_b32 s20, s36, s60                                // 000000009478: 85143C24
	v_readlane_b32 s82, v3, 17                                 // 00000000947C: D2890052 00012303
	s_and_b32 s82, s82, 0xffffff                               // 000000009484: 8652FF52 00FFFFFF
	s_cmp_lt_u32 s82, s66                                      // 00000000948C: BF0A4252
	s_cselect_b32 s21, s36, s60                                // 000000009490: 85153C24
	s_mov_b64 exec, s[20:21]                                   // 000000009494: BEFE0114
	global_atomic_add_f32 v6, v88, s[8:9]                      // 000000009498: DD348000 00085806
	s_mov_b64 exec, s[36:37]                                   // 0000000094A0: BEFE0124
	v_mov_b32_e32 v6, v65                                      // 0000000094A4: 7E0C0341
	s_mov_b64 s[60:61], 0                                      // 0000000094A8: BEBC0180
	v_readlane_b32 s82, v3, 18                                 // 0000000094AC: D2890052 00012503
	s_and_b32 s82, s82, 0xffffff                               // 0000000094B4: 8652FF52 00FFFFFF
	s_cmp_lt_u32 s82, s66                                      // 0000000094BC: BF0A4252
	s_cselect_b32 s20, s36, s60                                // 0000000094C0: 85143C24
	v_readlane_b32 s82, v3, 19                                 // 0000000094C4: D2890052 00012703
	s_and_b32 s82, s82, 0xffffff                               // 0000000094CC: 8652FF52 00FFFFFF
	s_cmp_lt_u32 s82, s66                                      // 0000000094D4: BF0A4252
	s_cselect_b32 s21, s36, s60                                // 0000000094D8: 85153C24
	s_mov_b64 exec, s[20:21]                                   // 0000000094DC: BEFE0114
	global_atomic_add_f32 v6, v89, s[8:9]                      // 0000000094E0: DD348000 00085906
	s_mov_b64 exec, s[36:37]                                   // 0000000094E8: BEFE0124
	v_mov_b32_e32 v6, v66                                      // 0000000094EC: 7E0C0342
	s_mov_b64 s[60:61], 0                                      // 0000000094F0: BEBC0180
	v_readlane_b32 s82, v3, 20                                 // 0000000094F4: D2890052 00012903
	s_and_b32 s82, s82, 0xffffff                               // 0000000094FC: 8652FF52 00FFFFFF
	s_cmp_lt_u32 s82, s66                                      // 000000009504: BF0A4252
	s_cselect_b32 s20, s36, s60                                // 000000009508: 85143C24
	v_readlane_b32 s82, v3, 21                                 // 00000000950C: D2890052 00012B03
	s_and_b32 s82, s82, 0xffffff                               // 000000009514: 8652FF52 00FFFFFF
	s_cmp_lt_u32 s82, s66                                      // 00000000951C: BF0A4252
	s_cselect_b32 s21, s36, s60                                // 000000009520: 85153C24
	s_mov_b64 exec, s[20:21]                                   // 000000009524: BEFE0114
	global_atomic_add_f32 v6, v92, s[8:9]                      // 000000009528: DD348000 00085C06
	s_mov_b64 exec, s[36:37]                                   // 000000009530: BEFE0124
	v_mov_b32_e32 v6, v67                                      // 000000009534: 7E0C0343
	s_mov_b64 s[60:61], 0                                      // 000000009538: BEBC0180
	v_readlane_b32 s82, v3, 22                                 // 00000000953C: D2890052 00012D03
	s_and_b32 s82, s82, 0xffffff                               // 000000009544: 8652FF52 00FFFFFF
	s_cmp_lt_u32 s82, s66                                      // 00000000954C: BF0A4252
	s_cselect_b32 s20, s36, s60                                // 000000009550: 85143C24
	v_readlane_b32 s82, v3, 23                                 // 000000009554: D2890052 00012F03
	s_and_b32 s82, s82, 0xffffff                               // 00000000955C: 8652FF52 00FFFFFF
	s_cmp_lt_u32 s82, s66                                      // 000000009564: BF0A4252
	s_cselect_b32 s21, s36, s60                                // 000000009568: 85153C24
	s_mov_b64 exec, s[20:21]                                   // 00000000956C: BEFE0114
	global_atomic_add_f32 v6, v93, s[8:9]                      // 000000009570: DD348000 00085D06
	s_mov_b64 exec, s[36:37]                                   // 000000009578: BEFE0124
	v_mov_b32_e32 v6, v68                                      // 00000000957C: 7E0C0344
	s_mov_b64 s[60:61], 0                                      // 000000009580: BEBC0180
	v_readlane_b32 s82, v3, 24                                 // 000000009584: D2890052 00013103
	s_and_b32 s82, s82, 0xffffff                               // 00000000958C: 8652FF52 00FFFFFF
	s_cmp_lt_u32 s82, s66                                      // 000000009594: BF0A4252
	s_cselect_b32 s20, s36, s60                                // 000000009598: 85143C24
	v_readlane_b32 s82, v3, 25                                 // 00000000959C: D2890052 00013303
	s_and_b32 s82, s82, 0xffffff                               // 0000000095A4: 8652FF52 00FFFFFF
	s_cmp_lt_u32 s82, s66                                      // 0000000095AC: BF0A4252
	s_cselect_b32 s21, s36, s60                                // 0000000095B0: 85153C24
	s_mov_b64 exec, s[20:21]                                   // 0000000095B4: BEFE0114
	global_atomic_add_f32 v6, v96, s[8:9]                      // 0000000095B8: DD348000 00086006
	s_mov_b64 exec, s[36:37]                                   // 0000000095C0: BEFE0124
	v_mov_b32_e32 v6, v69                                      // 0000000095C4: 7E0C0345
	s_mov_b64 s[60:61], 0                                      // 0000000095C8: BEBC0180
	v_readlane_b32 s82, v3, 26                                 // 0000000095CC: D2890052 00013503
	s_and_b32 s82, s82, 0xffffff                               // 0000000095D4: 8652FF52 00FFFFFF
	s_cmp_lt_u32 s82, s66                                      // 0000000095DC: BF0A4252
	s_cselect_b32 s20, s36, s60                                // 0000000095E0: 85143C24
	v_readlane_b32 s82, v3, 27                                 // 0000000095E4: D2890052 00013703
	s_and_b32 s82, s82, 0xffffff                               // 0000000095EC: 8652FF52 00FFFFFF
	s_cmp_lt_u32 s82, s66                                      // 0000000095F4: BF0A4252
	s_cselect_b32 s21, s36, s60                                // 0000000095F8: 85153C24
	s_mov_b64 exec, s[20:21]                                   // 0000000095FC: BEFE0114
	global_atomic_add_f32 v6, v97, s[8:9]                      // 000000009600: DD348000 00086106
	s_mov_b64 exec, s[36:37]                                   // 000000009608: BEFE0124
	ds_write_b64 v20, v[74:75]                                 // 00000000960C: D89A0000 00004A14
	ds_write_b64 v20, v[78:79] offset:2176                     // 000000009614: D89A0880 00004E14
	ds_write_b64 v20, v[82:83] offset:4352                     // 00000000961C: D89A1100 00005214
	ds_write_b64 v20, v[86:87] offset:6528                     // 000000009624: D89A1980 00005614
	ds_write_b64 v20, v[90:91] offset:8704                     // 00000000962C: D89A2200 00005A14
	ds_write_b64 v20, v[94:95] offset:10880                    // 000000009634: D89A2A80 00005E14
	ds_write_b64 v20, v[98:99] offset:13056                    // 00000000963C: D89A3300 00006214
	s_waitcnt lgkmcnt(0)                                       // 000000009644: BF8CC07F
	s_barrier                                                  // 000000009648: BF8A0000
	ds_read_b32 v74, v21                                       // 00000000964C: D86C0000 4A000015
	ds_read_b32 v75, v21 offset:64                             // 000000009654: D86C0040 4B000015
	ds_read_b32 v78, v21 offset:2176                           // 00000000965C: D86C0880 4E000015
	ds_read_b32 v79, v21 offset:2240                           // 000000009664: D86C08C0 4F000015
	ds_read_b32 v82, v21 offset:4352                           // 00000000966C: D86C1100 52000015
	ds_read_b32 v83, v21 offset:4416                           // 000000009674: D86C1140 53000015
	ds_read_b32 v86, v21 offset:6528                           // 00000000967C: D86C1980 56000015
	ds_read_b32 v87, v21 offset:6592                           // 000000009684: D86C19C0 57000015
	ds_read_b32 v90, v21 offset:8704                           // 00000000968C: D86C2200 5A000015
	ds_read_b32 v91, v21 offset:8768                           // 000000009694: D86C2240 5B000015
	ds_read_b32 v94, v21 offset:10880                          // 00000000969C: D86C2A80 5E000015
	ds_read_b32 v95, v21 offset:10944                          // 0000000096A4: D86C2AC0 5F000015
	ds_read_b32 v98, v21 offset:13056                          // 0000000096AC: D86C3300 62000015
	ds_read_b32 v99, v21 offset:13120                          // 0000000096B4: D86C3340 63000015
	s_waitcnt lgkmcnt(0)                                       // 0000000096BC: BF8CC07F
	v_mov_b32_e32 v7, 0                                        // 0000000096C0: 7E0E0280
	s_mov_b64 exec, s[36:37]                                   // 0000000096C4: BEFE0124
	v_mov_b32_e32 v6, v56                                      // 0000000096C8: 7E0C0338
	s_mov_b64 s[60:61], 0                                      // 0000000096CC: BEBC0180
	v_readlane_b32 s82, v3, 0                                  // 0000000096D0: D2890052 00010103
	s_and_b32 s82, s82, 0xffffff                               // 0000000096D8: 8652FF52 00FFFFFF
	s_cmp_lt_u32 s82, s66                                      // 0000000096E0: BF0A4252
	s_cselect_b32 s20, s36, s60                                // 0000000096E4: 85143C24
	v_readlane_b32 s82, v3, 1                                  // 0000000096E8: D2890052 00010303
	s_and_b32 s82, s82, 0xffffff                               // 0000000096F0: 8652FF52 00FFFFFF
	s_cmp_lt_u32 s82, s66                                      // 0000000096F8: BF0A4252
	s_cselect_b32 s21, s36, s60                                // 0000000096FC: 85153C24
	s_mov_b64 exec, s[20:21]                                   // 000000009700: BEFE0114
	global_atomic_add_f32 v6, v74, s[8:9] offset:8             // 000000009704: DD348008 00084A06
	s_mov_b64 exec, s[36:37]                                   // 00000000970C: BEFE0124
	v_mov_b32_e32 v6, v57                                      // 000000009710: 7E0C0339
	s_mov_b64 s[60:61], 0                                      // 000000009714: BEBC0180
	v_readlane_b32 s82, v3, 2                                  // 000000009718: D2890052 00010503
	s_and_b32 s82, s82, 0xffffff                               // 000000009720: 8652FF52 00FFFFFF
	s_cmp_lt_u32 s82, s66                                      // 000000009728: BF0A4252
	s_cselect_b32 s20, s36, s60                                // 00000000972C: 85143C24
	v_readlane_b32 s82, v3, 3                                  // 000000009730: D2890052 00010703
	s_and_b32 s82, s82, 0xffffff                               // 000000009738: 8652FF52 00FFFFFF
	s_cmp_lt_u32 s82, s66                                      // 000000009740: BF0A4252
	s_cselect_b32 s21, s36, s60                                // 000000009744: 85153C24
	s_mov_b64 exec, s[20:21]                                   // 000000009748: BEFE0114
	global_atomic_add_f32 v6, v75, s[8:9] offset:8             // 00000000974C: DD348008 00084B06
	s_mov_b64 exec, s[36:37]                                   // 000000009754: BEFE0124
	v_mov_b32_e32 v6, v58                                      // 000000009758: 7E0C033A
	s_mov_b64 s[60:61], 0                                      // 00000000975C: BEBC0180
	v_readlane_b32 s82, v3, 4                                  // 000000009760: D2890052 00010903
	s_and_b32 s82, s82, 0xffffff                               // 000000009768: 8652FF52 00FFFFFF
	s_cmp_lt_u32 s82, s66                                      // 000000009770: BF0A4252
	s_cselect_b32 s20, s36, s60                                // 000000009774: 85143C24
	v_readlane_b32 s82, v3, 5                                  // 000000009778: D2890052 00010B03
	s_and_b32 s82, s82, 0xffffff                               // 000000009780: 8652FF52 00FFFFFF
	s_cmp_lt_u32 s82, s66                                      // 000000009788: BF0A4252
	s_cselect_b32 s21, s36, s60                                // 00000000978C: 85153C24
	s_mov_b64 exec, s[20:21]                                   // 000000009790: BEFE0114
	global_atomic_add_f32 v6, v78, s[8:9] offset:8             // 000000009794: DD348008 00084E06
	s_mov_b64 exec, s[36:37]                                   // 00000000979C: BEFE0124
	v_mov_b32_e32 v6, v59                                      // 0000000097A0: 7E0C033B
	s_mov_b64 s[60:61], 0                                      // 0000000097A4: BEBC0180
	v_readlane_b32 s82, v3, 6                                  // 0000000097A8: D2890052 00010D03
	s_and_b32 s82, s82, 0xffffff                               // 0000000097B0: 8652FF52 00FFFFFF
	s_cmp_lt_u32 s82, s66                                      // 0000000097B8: BF0A4252
	s_cselect_b32 s20, s36, s60                                // 0000000097BC: 85143C24
	v_readlane_b32 s82, v3, 7                                  // 0000000097C0: D2890052 00010F03
	s_and_b32 s82, s82, 0xffffff                               // 0000000097C8: 8652FF52 00FFFFFF
	s_cmp_lt_u32 s82, s66                                      // 0000000097D0: BF0A4252
	s_cselect_b32 s21, s36, s60                                // 0000000097D4: 85153C24
	s_mov_b64 exec, s[20:21]                                   // 0000000097D8: BEFE0114
	global_atomic_add_f32 v6, v79, s[8:9] offset:8             // 0000000097DC: DD348008 00084F06
	s_mov_b64 exec, s[36:37]                                   // 0000000097E4: BEFE0124
	v_mov_b32_e32 v6, v60                                      // 0000000097E8: 7E0C033C
	s_mov_b64 s[60:61], 0                                      // 0000000097EC: BEBC0180
	v_readlane_b32 s82, v3, 8                                  // 0000000097F0: D2890052 00011103
	s_and_b32 s82, s82, 0xffffff                               // 0000000097F8: 8652FF52 00FFFFFF
	s_cmp_lt_u32 s82, s66                                      // 000000009800: BF0A4252
	s_cselect_b32 s20, s36, s60                                // 000000009804: 85143C24
	v_readlane_b32 s82, v3, 9                                  // 000000009808: D2890052 00011303
	s_and_b32 s82, s82, 0xffffff                               // 000000009810: 8652FF52 00FFFFFF
	s_cmp_lt_u32 s82, s66                                      // 000000009818: BF0A4252
	s_cselect_b32 s21, s36, s60                                // 00000000981C: 85153C24
	s_mov_b64 exec, s[20:21]                                   // 000000009820: BEFE0114
	global_atomic_add_f32 v6, v82, s[8:9] offset:8             // 000000009824: DD348008 00085206
	s_mov_b64 exec, s[36:37]                                   // 00000000982C: BEFE0124
	v_mov_b32_e32 v6, v61                                      // 000000009830: 7E0C033D
	s_mov_b64 s[60:61], 0                                      // 000000009834: BEBC0180
	v_readlane_b32 s82, v3, 10                                 // 000000009838: D2890052 00011503
	s_and_b32 s82, s82, 0xffffff                               // 000000009840: 8652FF52 00FFFFFF
	s_cmp_lt_u32 s82, s66                                      // 000000009848: BF0A4252
	s_cselect_b32 s20, s36, s60                                // 00000000984C: 85143C24
	v_readlane_b32 s82, v3, 11                                 // 000000009850: D2890052 00011703
	s_and_b32 s82, s82, 0xffffff                               // 000000009858: 8652FF52 00FFFFFF
	s_cmp_lt_u32 s82, s66                                      // 000000009860: BF0A4252
	s_cselect_b32 s21, s36, s60                                // 000000009864: 85153C24
	s_mov_b64 exec, s[20:21]                                   // 000000009868: BEFE0114
	global_atomic_add_f32 v6, v83, s[8:9] offset:8             // 00000000986C: DD348008 00085306
	s_mov_b64 exec, s[36:37]                                   // 000000009874: BEFE0124
	v_mov_b32_e32 v6, v62                                      // 000000009878: 7E0C033E
	s_mov_b64 s[60:61], 0                                      // 00000000987C: BEBC0180
	v_readlane_b32 s82, v3, 12                                 // 000000009880: D2890052 00011903
	s_and_b32 s82, s82, 0xffffff                               // 000000009888: 8652FF52 00FFFFFF
	s_cmp_lt_u32 s82, s66                                      // 000000009890: BF0A4252
	s_cselect_b32 s20, s36, s60                                // 000000009894: 85143C24
	v_readlane_b32 s82, v3, 13                                 // 000000009898: D2890052 00011B03
	s_and_b32 s82, s82, 0xffffff                               // 0000000098A0: 8652FF52 00FFFFFF
	s_cmp_lt_u32 s82, s66                                      // 0000000098A8: BF0A4252
	s_cselect_b32 s21, s36, s60                                // 0000000098AC: 85153C24
	s_mov_b64 exec, s[20:21]                                   // 0000000098B0: BEFE0114
	global_atomic_add_f32 v6, v86, s[8:9] offset:8             // 0000000098B4: DD348008 00085606
	s_mov_b64 exec, s[36:37]                                   // 0000000098BC: BEFE0124
	v_mov_b32_e32 v6, v63                                      // 0000000098C0: 7E0C033F
	s_mov_b64 s[60:61], 0                                      // 0000000098C4: BEBC0180
	v_readlane_b32 s82, v3, 14                                 // 0000000098C8: D2890052 00011D03
	s_and_b32 s82, s82, 0xffffff                               // 0000000098D0: 8652FF52 00FFFFFF
	s_cmp_lt_u32 s82, s66                                      // 0000000098D8: BF0A4252
	s_cselect_b32 s20, s36, s60                                // 0000000098DC: 85143C24
	v_readlane_b32 s82, v3, 15                                 // 0000000098E0: D2890052 00011F03
	s_and_b32 s82, s82, 0xffffff                               // 0000000098E8: 8652FF52 00FFFFFF
	s_cmp_lt_u32 s82, s66                                      // 0000000098F0: BF0A4252
	s_cselect_b32 s21, s36, s60                                // 0000000098F4: 85153C24
	s_mov_b64 exec, s[20:21]                                   // 0000000098F8: BEFE0114
	global_atomic_add_f32 v6, v87, s[8:9] offset:8             // 0000000098FC: DD348008 00085706
	s_mov_b64 exec, s[36:37]                                   // 000000009904: BEFE0124
	v_mov_b32_e32 v6, v64                                      // 000000009908: 7E0C0340
	s_mov_b64 s[60:61], 0                                      // 00000000990C: BEBC0180
	v_readlane_b32 s82, v3, 16                                 // 000000009910: D2890052 00012103
	s_and_b32 s82, s82, 0xffffff                               // 000000009918: 8652FF52 00FFFFFF
	s_cmp_lt_u32 s82, s66                                      // 000000009920: BF0A4252
	s_cselect_b32 s20, s36, s60                                // 000000009924: 85143C24
	v_readlane_b32 s82, v3, 17                                 // 000000009928: D2890052 00012303
	s_and_b32 s82, s82, 0xffffff                               // 000000009930: 8652FF52 00FFFFFF
	s_cmp_lt_u32 s82, s66                                      // 000000009938: BF0A4252
	s_cselect_b32 s21, s36, s60                                // 00000000993C: 85153C24
	s_mov_b64 exec, s[20:21]                                   // 000000009940: BEFE0114
	global_atomic_add_f32 v6, v90, s[8:9] offset:8             // 000000009944: DD348008 00085A06
	s_mov_b64 exec, s[36:37]                                   // 00000000994C: BEFE0124
	v_mov_b32_e32 v6, v65                                      // 000000009950: 7E0C0341
	s_mov_b64 s[60:61], 0                                      // 000000009954: BEBC0180
	v_readlane_b32 s82, v3, 18                                 // 000000009958: D2890052 00012503
	s_and_b32 s82, s82, 0xffffff                               // 000000009960: 8652FF52 00FFFFFF
	s_cmp_lt_u32 s82, s66                                      // 000000009968: BF0A4252
	s_cselect_b32 s20, s36, s60                                // 00000000996C: 85143C24
	v_readlane_b32 s82, v3, 19                                 // 000000009970: D2890052 00012703
	s_and_b32 s82, s82, 0xffffff                               // 000000009978: 8652FF52 00FFFFFF
	s_cmp_lt_u32 s82, s66                                      // 000000009980: BF0A4252
	s_cselect_b32 s21, s36, s60                                // 000000009984: 85153C24
	s_mov_b64 exec, s[20:21]                                   // 000000009988: BEFE0114
	global_atomic_add_f32 v6, v91, s[8:9] offset:8             // 00000000998C: DD348008 00085B06
	s_mov_b64 exec, s[36:37]                                   // 000000009994: BEFE0124
	v_mov_b32_e32 v6, v66                                      // 000000009998: 7E0C0342
	s_mov_b64 s[60:61], 0                                      // 00000000999C: BEBC0180
	v_readlane_b32 s82, v3, 20                                 // 0000000099A0: D2890052 00012903
	s_and_b32 s82, s82, 0xffffff                               // 0000000099A8: 8652FF52 00FFFFFF
	s_cmp_lt_u32 s82, s66                                      // 0000000099B0: BF0A4252
	s_cselect_b32 s20, s36, s60                                // 0000000099B4: 85143C24
	v_readlane_b32 s82, v3, 21                                 // 0000000099B8: D2890052 00012B03
	s_and_b32 s82, s82, 0xffffff                               // 0000000099C0: 8652FF52 00FFFFFF
	s_cmp_lt_u32 s82, s66                                      // 0000000099C8: BF0A4252
	s_cselect_b32 s21, s36, s60                                // 0000000099CC: 85153C24
	s_mov_b64 exec, s[20:21]                                   // 0000000099D0: BEFE0114
	global_atomic_add_f32 v6, v94, s[8:9] offset:8             // 0000000099D4: DD348008 00085E06
	s_mov_b64 exec, s[36:37]                                   // 0000000099DC: BEFE0124
	v_mov_b32_e32 v6, v67                                      // 0000000099E0: 7E0C0343
	s_mov_b64 s[60:61], 0                                      // 0000000099E4: BEBC0180
	v_readlane_b32 s82, v3, 22                                 // 0000000099E8: D2890052 00012D03
	s_and_b32 s82, s82, 0xffffff                               // 0000000099F0: 8652FF52 00FFFFFF
	s_cmp_lt_u32 s82, s66                                      // 0000000099F8: BF0A4252
	s_cselect_b32 s20, s36, s60                                // 0000000099FC: 85143C24
	v_readlane_b32 s82, v3, 23                                 // 000000009A00: D2890052 00012F03
	s_and_b32 s82, s82, 0xffffff                               // 000000009A08: 8652FF52 00FFFFFF
	s_cmp_lt_u32 s82, s66                                      // 000000009A10: BF0A4252
	s_cselect_b32 s21, s36, s60                                // 000000009A14: 85153C24
	s_mov_b64 exec, s[20:21]                                   // 000000009A18: BEFE0114
	global_atomic_add_f32 v6, v95, s[8:9] offset:8             // 000000009A1C: DD348008 00085F06
	s_mov_b64 exec, s[36:37]                                   // 000000009A24: BEFE0124
	v_mov_b32_e32 v6, v68                                      // 000000009A28: 7E0C0344
	s_mov_b64 s[60:61], 0                                      // 000000009A2C: BEBC0180
	v_readlane_b32 s82, v3, 24                                 // 000000009A30: D2890052 00013103
	s_and_b32 s82, s82, 0xffffff                               // 000000009A38: 8652FF52 00FFFFFF
	s_cmp_lt_u32 s82, s66                                      // 000000009A40: BF0A4252
	s_cselect_b32 s20, s36, s60                                // 000000009A44: 85143C24
	v_readlane_b32 s82, v3, 25                                 // 000000009A48: D2890052 00013303
	s_and_b32 s82, s82, 0xffffff                               // 000000009A50: 8652FF52 00FFFFFF
	s_cmp_lt_u32 s82, s66                                      // 000000009A58: BF0A4252
	s_cselect_b32 s21, s36, s60                                // 000000009A5C: 85153C24
	s_mov_b64 exec, s[20:21]                                   // 000000009A60: BEFE0114
	global_atomic_add_f32 v6, v98, s[8:9] offset:8             // 000000009A64: DD348008 00086206
	s_mov_b64 exec, s[36:37]                                   // 000000009A6C: BEFE0124
	v_mov_b32_e32 v6, v69                                      // 000000009A70: 7E0C0345
	s_mov_b64 s[60:61], 0                                      // 000000009A74: BEBC0180
	v_readlane_b32 s82, v3, 26                                 // 000000009A78: D2890052 00013503
	s_and_b32 s82, s82, 0xffffff                               // 000000009A80: 8652FF52 00FFFFFF
	s_cmp_lt_u32 s82, s66                                      // 000000009A88: BF0A4252
	s_cselect_b32 s20, s36, s60                                // 000000009A8C: 85143C24
	v_readlane_b32 s82, v3, 27                                 // 000000009A90: D2890052 00013703
	s_and_b32 s82, s82, 0xffffff                               // 000000009A98: 8652FF52 00FFFFFF
	s_cmp_lt_u32 s82, s66                                      // 000000009AA0: BF0A4252
	s_cselect_b32 s21, s36, s60                                // 000000009AA4: 85153C24
	s_mov_b64 exec, s[20:21]                                   // 000000009AA8: BEFE0114
	global_atomic_add_f32 v6, v99, s[8:9] offset:8             // 000000009AAC: DD348008 00086306
	s_mov_b64 exec, s[36:37]                                   // 000000009AB4: BEFE0124
	ds_write_b64 v20, v[100:101]                               // 000000009AB8: D89A0000 00006414
	ds_write_b64 v20, v[104:105] offset:2176                   // 000000009AC0: D89A0880 00006814
	ds_write_b64 v20, v[108:109] offset:4352                   // 000000009AC8: D89A1100 00006C14
	ds_write_b64 v20, v[112:113] offset:6528                   // 000000009AD0: D89A1980 00007014
	ds_write_b64 v20, v[116:117] offset:8704                   // 000000009AD8: D89A2200 00007414
	ds_write_b64 v20, v[120:121] offset:10880                  // 000000009AE0: D89A2A80 00007814
	ds_write_b64 v20, v[124:125] offset:13056                  // 000000009AE8: D89A3300 00007C14
	s_waitcnt lgkmcnt(0)                                       // 000000009AF0: BF8CC07F
	s_barrier                                                  // 000000009AF4: BF8A0000
	ds_read_b32 v100, v21                                      // 000000009AF8: D86C0000 64000015
	ds_read_b32 v101, v21 offset:64                            // 000000009B00: D86C0040 65000015
	ds_read_b32 v104, v21 offset:2176                          // 000000009B08: D86C0880 68000015
	ds_read_b32 v105, v21 offset:2240                          // 000000009B10: D86C08C0 69000015
	ds_read_b32 v108, v21 offset:4352                          // 000000009B18: D86C1100 6C000015
	ds_read_b32 v109, v21 offset:4416                          // 000000009B20: D86C1140 6D000015
	ds_read_b32 v112, v21 offset:6528                          // 000000009B28: D86C1980 70000015
	ds_read_b32 v113, v21 offset:6592                          // 000000009B30: D86C19C0 71000015
	ds_read_b32 v116, v21 offset:8704                          // 000000009B38: D86C2200 74000015
	ds_read_b32 v117, v21 offset:8768                          // 000000009B40: D86C2240 75000015
	ds_read_b32 v120, v21 offset:10880                         // 000000009B48: D86C2A80 78000015
	ds_read_b32 v121, v21 offset:10944                         // 000000009B50: D86C2AC0 79000015
	ds_read_b32 v124, v21 offset:13056                         // 000000009B58: D86C3300 7C000015
	ds_read_b32 v125, v21 offset:13120                         // 000000009B60: D86C3340 7D000015
	s_mul_i32 s60, s65, 4                                      // 000000009B68: 923C8441
	s_add_u32 s8, s60, s8                                      // 000000009B6C: 8008083C
	s_addc_u32 s9, 0, s9                                       // 000000009B70: 82090980
	s_waitcnt lgkmcnt(0)                                       // 000000009B74: BF8CC07F
	v_mov_b32_e32 v7, 0                                        // 000000009B78: 7E0E0280
	s_mov_b64 exec, s[36:37]                                   // 000000009B7C: BEFE0124
	v_mov_b32_e32 v6, v56                                      // 000000009B80: 7E0C0338
	s_mov_b64 s[60:61], 0                                      // 000000009B84: BEBC0180
	v_readlane_b32 s82, v3, 0                                  // 000000009B88: D2890052 00010103
	s_and_b32 s82, s82, 0xffffff                               // 000000009B90: 8652FF52 00FFFFFF
	s_cmp_lt_u32 s82, s66                                      // 000000009B98: BF0A4252
	s_cselect_b32 s20, s36, s60                                // 000000009B9C: 85143C24
	v_readlane_b32 s82, v3, 1                                  // 000000009BA0: D2890052 00010303
	s_and_b32 s82, s82, 0xffffff                               // 000000009BA8: 8652FF52 00FFFFFF
	s_cmp_lt_u32 s82, s66                                      // 000000009BB0: BF0A4252
	s_cselect_b32 s21, s36, s60                                // 000000009BB4: 85153C24
	s_mov_b64 exec, s[20:21]                                   // 000000009BB8: BEFE0114
	global_atomic_add_f32 v6, v100, s[8:9]                     // 000000009BBC: DD348000 00086406
	s_mov_b64 exec, s[36:37]                                   // 000000009BC4: BEFE0124
	v_mov_b32_e32 v6, v57                                      // 000000009BC8: 7E0C0339
	s_mov_b64 s[60:61], 0                                      // 000000009BCC: BEBC0180
	v_readlane_b32 s82, v3, 2                                  // 000000009BD0: D2890052 00010503
	s_and_b32 s82, s82, 0xffffff                               // 000000009BD8: 8652FF52 00FFFFFF
	s_cmp_lt_u32 s82, s66                                      // 000000009BE0: BF0A4252
	s_cselect_b32 s20, s36, s60                                // 000000009BE4: 85143C24
	v_readlane_b32 s82, v3, 3                                  // 000000009BE8: D2890052 00010703
	s_and_b32 s82, s82, 0xffffff                               // 000000009BF0: 8652FF52 00FFFFFF
	s_cmp_lt_u32 s82, s66                                      // 000000009BF8: BF0A4252
	s_cselect_b32 s21, s36, s60                                // 000000009BFC: 85153C24
	s_mov_b64 exec, s[20:21]                                   // 000000009C00: BEFE0114
	global_atomic_add_f32 v6, v101, s[8:9]                     // 000000009C04: DD348000 00086506
	s_mov_b64 exec, s[36:37]                                   // 000000009C0C: BEFE0124
	v_mov_b32_e32 v6, v58                                      // 000000009C10: 7E0C033A
	s_mov_b64 s[60:61], 0                                      // 000000009C14: BEBC0180
	v_readlane_b32 s82, v3, 4                                  // 000000009C18: D2890052 00010903
	s_and_b32 s82, s82, 0xffffff                               // 000000009C20: 8652FF52 00FFFFFF
	s_cmp_lt_u32 s82, s66                                      // 000000009C28: BF0A4252
	s_cselect_b32 s20, s36, s60                                // 000000009C2C: 85143C24
	v_readlane_b32 s82, v3, 5                                  // 000000009C30: D2890052 00010B03
	s_and_b32 s82, s82, 0xffffff                               // 000000009C38: 8652FF52 00FFFFFF
	s_cmp_lt_u32 s82, s66                                      // 000000009C40: BF0A4252
	s_cselect_b32 s21, s36, s60                                // 000000009C44: 85153C24
	s_mov_b64 exec, s[20:21]                                   // 000000009C48: BEFE0114
	global_atomic_add_f32 v6, v104, s[8:9]                     // 000000009C4C: DD348000 00086806
	s_mov_b64 exec, s[36:37]                                   // 000000009C54: BEFE0124
	v_mov_b32_e32 v6, v59                                      // 000000009C58: 7E0C033B
	s_mov_b64 s[60:61], 0                                      // 000000009C5C: BEBC0180
	v_readlane_b32 s82, v3, 6                                  // 000000009C60: D2890052 00010D03
	s_and_b32 s82, s82, 0xffffff                               // 000000009C68: 8652FF52 00FFFFFF
	s_cmp_lt_u32 s82, s66                                      // 000000009C70: BF0A4252
	s_cselect_b32 s20, s36, s60                                // 000000009C74: 85143C24
	v_readlane_b32 s82, v3, 7                                  // 000000009C78: D2890052 00010F03
	s_and_b32 s82, s82, 0xffffff                               // 000000009C80: 8652FF52 00FFFFFF
	s_cmp_lt_u32 s82, s66                                      // 000000009C88: BF0A4252
	s_cselect_b32 s21, s36, s60                                // 000000009C8C: 85153C24
	s_mov_b64 exec, s[20:21]                                   // 000000009C90: BEFE0114
	global_atomic_add_f32 v6, v105, s[8:9]                     // 000000009C94: DD348000 00086906
	s_mov_b64 exec, s[36:37]                                   // 000000009C9C: BEFE0124
	v_mov_b32_e32 v6, v60                                      // 000000009CA0: 7E0C033C
	s_mov_b64 s[60:61], 0                                      // 000000009CA4: BEBC0180
	v_readlane_b32 s82, v3, 8                                  // 000000009CA8: D2890052 00011103
	s_and_b32 s82, s82, 0xffffff                               // 000000009CB0: 8652FF52 00FFFFFF
	s_cmp_lt_u32 s82, s66                                      // 000000009CB8: BF0A4252
	s_cselect_b32 s20, s36, s60                                // 000000009CBC: 85143C24
	v_readlane_b32 s82, v3, 9                                  // 000000009CC0: D2890052 00011303
	s_and_b32 s82, s82, 0xffffff                               // 000000009CC8: 8652FF52 00FFFFFF
	s_cmp_lt_u32 s82, s66                                      // 000000009CD0: BF0A4252
	s_cselect_b32 s21, s36, s60                                // 000000009CD4: 85153C24
	s_mov_b64 exec, s[20:21]                                   // 000000009CD8: BEFE0114
	global_atomic_add_f32 v6, v108, s[8:9]                     // 000000009CDC: DD348000 00086C06
	s_mov_b64 exec, s[36:37]                                   // 000000009CE4: BEFE0124
	v_mov_b32_e32 v6, v61                                      // 000000009CE8: 7E0C033D
	s_mov_b64 s[60:61], 0                                      // 000000009CEC: BEBC0180
	v_readlane_b32 s82, v3, 10                                 // 000000009CF0: D2890052 00011503
	s_and_b32 s82, s82, 0xffffff                               // 000000009CF8: 8652FF52 00FFFFFF
	s_cmp_lt_u32 s82, s66                                      // 000000009D00: BF0A4252
	s_cselect_b32 s20, s36, s60                                // 000000009D04: 85143C24
	v_readlane_b32 s82, v3, 11                                 // 000000009D08: D2890052 00011703
	s_and_b32 s82, s82, 0xffffff                               // 000000009D10: 8652FF52 00FFFFFF
	s_cmp_lt_u32 s82, s66                                      // 000000009D18: BF0A4252
	s_cselect_b32 s21, s36, s60                                // 000000009D1C: 85153C24
	s_mov_b64 exec, s[20:21]                                   // 000000009D20: BEFE0114
	global_atomic_add_f32 v6, v109, s[8:9]                     // 000000009D24: DD348000 00086D06
	s_mov_b64 exec, s[36:37]                                   // 000000009D2C: BEFE0124
	v_mov_b32_e32 v6, v62                                      // 000000009D30: 7E0C033E
	s_mov_b64 s[60:61], 0                                      // 000000009D34: BEBC0180
	v_readlane_b32 s82, v3, 12                                 // 000000009D38: D2890052 00011903
	s_and_b32 s82, s82, 0xffffff                               // 000000009D40: 8652FF52 00FFFFFF
	s_cmp_lt_u32 s82, s66                                      // 000000009D48: BF0A4252
	s_cselect_b32 s20, s36, s60                                // 000000009D4C: 85143C24
	v_readlane_b32 s82, v3, 13                                 // 000000009D50: D2890052 00011B03
	s_and_b32 s82, s82, 0xffffff                               // 000000009D58: 8652FF52 00FFFFFF
	s_cmp_lt_u32 s82, s66                                      // 000000009D60: BF0A4252
	s_cselect_b32 s21, s36, s60                                // 000000009D64: 85153C24
	s_mov_b64 exec, s[20:21]                                   // 000000009D68: BEFE0114
	global_atomic_add_f32 v6, v112, s[8:9]                     // 000000009D6C: DD348000 00087006
	s_mov_b64 exec, s[36:37]                                   // 000000009D74: BEFE0124
	v_mov_b32_e32 v6, v63                                      // 000000009D78: 7E0C033F
	s_mov_b64 s[60:61], 0                                      // 000000009D7C: BEBC0180
	v_readlane_b32 s82, v3, 14                                 // 000000009D80: D2890052 00011D03
	s_and_b32 s82, s82, 0xffffff                               // 000000009D88: 8652FF52 00FFFFFF
	s_cmp_lt_u32 s82, s66                                      // 000000009D90: BF0A4252
	s_cselect_b32 s20, s36, s60                                // 000000009D94: 85143C24
	v_readlane_b32 s82, v3, 15                                 // 000000009D98: D2890052 00011F03
	s_and_b32 s82, s82, 0xffffff                               // 000000009DA0: 8652FF52 00FFFFFF
	s_cmp_lt_u32 s82, s66                                      // 000000009DA8: BF0A4252
	s_cselect_b32 s21, s36, s60                                // 000000009DAC: 85153C24
	s_mov_b64 exec, s[20:21]                                   // 000000009DB0: BEFE0114
	global_atomic_add_f32 v6, v113, s[8:9]                     // 000000009DB4: DD348000 00087106
	s_mov_b64 exec, s[36:37]                                   // 000000009DBC: BEFE0124
	v_mov_b32_e32 v6, v64                                      // 000000009DC0: 7E0C0340
	s_mov_b64 s[60:61], 0                                      // 000000009DC4: BEBC0180
	v_readlane_b32 s82, v3, 16                                 // 000000009DC8: D2890052 00012103
	s_and_b32 s82, s82, 0xffffff                               // 000000009DD0: 8652FF52 00FFFFFF
	s_cmp_lt_u32 s82, s66                                      // 000000009DD8: BF0A4252
	s_cselect_b32 s20, s36, s60                                // 000000009DDC: 85143C24
	v_readlane_b32 s82, v3, 17                                 // 000000009DE0: D2890052 00012303
	s_and_b32 s82, s82, 0xffffff                               // 000000009DE8: 8652FF52 00FFFFFF
	s_cmp_lt_u32 s82, s66                                      // 000000009DF0: BF0A4252
	s_cselect_b32 s21, s36, s60                                // 000000009DF4: 85153C24
	s_mov_b64 exec, s[20:21]                                   // 000000009DF8: BEFE0114
	global_atomic_add_f32 v6, v116, s[8:9]                     // 000000009DFC: DD348000 00087406
	s_mov_b64 exec, s[36:37]                                   // 000000009E04: BEFE0124
	v_mov_b32_e32 v6, v65                                      // 000000009E08: 7E0C0341
	s_mov_b64 s[60:61], 0                                      // 000000009E0C: BEBC0180
	v_readlane_b32 s82, v3, 18                                 // 000000009E10: D2890052 00012503
	s_and_b32 s82, s82, 0xffffff                               // 000000009E18: 8652FF52 00FFFFFF
	s_cmp_lt_u32 s82, s66                                      // 000000009E20: BF0A4252
	s_cselect_b32 s20, s36, s60                                // 000000009E24: 85143C24
	v_readlane_b32 s82, v3, 19                                 // 000000009E28: D2890052 00012703
	s_and_b32 s82, s82, 0xffffff                               // 000000009E30: 8652FF52 00FFFFFF
	s_cmp_lt_u32 s82, s66                                      // 000000009E38: BF0A4252
	s_cselect_b32 s21, s36, s60                                // 000000009E3C: 85153C24
	s_mov_b64 exec, s[20:21]                                   // 000000009E40: BEFE0114
	global_atomic_add_f32 v6, v117, s[8:9]                     // 000000009E44: DD348000 00087506
	s_mov_b64 exec, s[36:37]                                   // 000000009E4C: BEFE0124
	v_mov_b32_e32 v6, v66                                      // 000000009E50: 7E0C0342
	s_mov_b64 s[60:61], 0                                      // 000000009E54: BEBC0180
	v_readlane_b32 s82, v3, 20                                 // 000000009E58: D2890052 00012903
	s_and_b32 s82, s82, 0xffffff                               // 000000009E60: 8652FF52 00FFFFFF
	s_cmp_lt_u32 s82, s66                                      // 000000009E68: BF0A4252
	s_cselect_b32 s20, s36, s60                                // 000000009E6C: 85143C24
	v_readlane_b32 s82, v3, 21                                 // 000000009E70: D2890052 00012B03
	s_and_b32 s82, s82, 0xffffff                               // 000000009E78: 8652FF52 00FFFFFF
	s_cmp_lt_u32 s82, s66                                      // 000000009E80: BF0A4252
	s_cselect_b32 s21, s36, s60                                // 000000009E84: 85153C24
	s_mov_b64 exec, s[20:21]                                   // 000000009E88: BEFE0114
	global_atomic_add_f32 v6, v120, s[8:9]                     // 000000009E8C: DD348000 00087806
	s_mov_b64 exec, s[36:37]                                   // 000000009E94: BEFE0124
	v_mov_b32_e32 v6, v67                                      // 000000009E98: 7E0C0343
	s_mov_b64 s[60:61], 0                                      // 000000009E9C: BEBC0180
	v_readlane_b32 s82, v3, 22                                 // 000000009EA0: D2890052 00012D03
	s_and_b32 s82, s82, 0xffffff                               // 000000009EA8: 8652FF52 00FFFFFF
	s_cmp_lt_u32 s82, s66                                      // 000000009EB0: BF0A4252
	s_cselect_b32 s20, s36, s60                                // 000000009EB4: 85143C24
	v_readlane_b32 s82, v3, 23                                 // 000000009EB8: D2890052 00012F03
	s_and_b32 s82, s82, 0xffffff                               // 000000009EC0: 8652FF52 00FFFFFF
	s_cmp_lt_u32 s82, s66                                      // 000000009EC8: BF0A4252
	s_cselect_b32 s21, s36, s60                                // 000000009ECC: 85153C24
	s_mov_b64 exec, s[20:21]                                   // 000000009ED0: BEFE0114
	global_atomic_add_f32 v6, v121, s[8:9]                     // 000000009ED4: DD348000 00087906
	s_mov_b64 exec, s[36:37]                                   // 000000009EDC: BEFE0124
	v_mov_b32_e32 v6, v68                                      // 000000009EE0: 7E0C0344
	s_mov_b64 s[60:61], 0                                      // 000000009EE4: BEBC0180
	v_readlane_b32 s82, v3, 24                                 // 000000009EE8: D2890052 00013103
	s_and_b32 s82, s82, 0xffffff                               // 000000009EF0: 8652FF52 00FFFFFF
	s_cmp_lt_u32 s82, s66                                      // 000000009EF8: BF0A4252
	s_cselect_b32 s20, s36, s60                                // 000000009EFC: 85143C24
	v_readlane_b32 s82, v3, 25                                 // 000000009F00: D2890052 00013303
	s_and_b32 s82, s82, 0xffffff                               // 000000009F08: 8652FF52 00FFFFFF
	s_cmp_lt_u32 s82, s66                                      // 000000009F10: BF0A4252
	s_cselect_b32 s21, s36, s60                                // 000000009F14: 85153C24
	s_mov_b64 exec, s[20:21]                                   // 000000009F18: BEFE0114
	global_atomic_add_f32 v6, v124, s[8:9]                     // 000000009F1C: DD348000 00087C06
	s_mov_b64 exec, s[36:37]                                   // 000000009F24: BEFE0124
	v_mov_b32_e32 v6, v69                                      // 000000009F28: 7E0C0345
	s_mov_b64 s[60:61], 0                                      // 000000009F2C: BEBC0180
	v_readlane_b32 s82, v3, 26                                 // 000000009F30: D2890052 00013503
	s_and_b32 s82, s82, 0xffffff                               // 000000009F38: 8652FF52 00FFFFFF
	s_cmp_lt_u32 s82, s66                                      // 000000009F40: BF0A4252
	s_cselect_b32 s20, s36, s60                                // 000000009F44: 85143C24
	v_readlane_b32 s82, v3, 27                                 // 000000009F48: D2890052 00013703
	s_and_b32 s82, s82, 0xffffff                               // 000000009F50: 8652FF52 00FFFFFF
	s_cmp_lt_u32 s82, s66                                      // 000000009F58: BF0A4252
	s_cselect_b32 s21, s36, s60                                // 000000009F5C: 85153C24
	s_mov_b64 exec, s[20:21]                                   // 000000009F60: BEFE0114
	global_atomic_add_f32 v6, v125, s[8:9]                     // 000000009F64: DD348000 00087D06
	s_mov_b64 exec, s[36:37]                                   // 000000009F6C: BEFE0124
	ds_write_b64 v20, v[102:103]                               // 000000009F70: D89A0000 00006614
	ds_write_b64 v20, v[106:107] offset:2176                   // 000000009F78: D89A0880 00006A14
	ds_write_b64 v20, v[110:111] offset:4352                   // 000000009F80: D89A1100 00006E14
	ds_write_b64 v20, v[114:115] offset:6528                   // 000000009F88: D89A1980 00007214
	ds_write_b64 v20, v[118:119] offset:8704                   // 000000009F90: D89A2200 00007614
	ds_write_b64 v20, v[122:123] offset:10880                  // 000000009F98: D89A2A80 00007A14
	ds_write_b64 v20, v[126:127] offset:13056                  // 000000009FA0: D89A3300 00007E14
	s_waitcnt lgkmcnt(0)                                       // 000000009FA8: BF8CC07F
	s_barrier                                                  // 000000009FAC: BF8A0000
	ds_read_b32 v102, v21                                      // 000000009FB0: D86C0000 66000015
	ds_read_b32 v103, v21 offset:64                            // 000000009FB8: D86C0040 67000015
	ds_read_b32 v106, v21 offset:2176                          // 000000009FC0: D86C0880 6A000015
	ds_read_b32 v107, v21 offset:2240                          // 000000009FC8: D86C08C0 6B000015
	ds_read_b32 v110, v21 offset:4352                          // 000000009FD0: D86C1100 6E000015
	ds_read_b32 v111, v21 offset:4416                          // 000000009FD8: D86C1140 6F000015
	ds_read_b32 v114, v21 offset:6528                          // 000000009FE0: D86C1980 72000015
	ds_read_b32 v115, v21 offset:6592                          // 000000009FE8: D86C19C0 73000015
	ds_read_b32 v118, v21 offset:8704                          // 000000009FF0: D86C2200 76000015
	ds_read_b32 v119, v21 offset:8768                          // 000000009FF8: D86C2240 77000015
	ds_read_b32 v122, v21 offset:10880                         // 00000000A000: D86C2A80 7A000015
	ds_read_b32 v123, v21 offset:10944                         // 00000000A008: D86C2AC0 7B000015
	ds_read_b32 v126, v21 offset:13056                         // 00000000A010: D86C3300 7E000015
	ds_read_b32 v127, v21 offset:13120                         // 00000000A018: D86C3340 7F000015
	s_waitcnt lgkmcnt(0)                                       // 00000000A020: BF8CC07F
	v_mov_b32_e32 v7, 0                                        // 00000000A024: 7E0E0280
	s_mov_b64 exec, s[36:37]                                   // 00000000A028: BEFE0124
	v_mov_b32_e32 v6, v56                                      // 00000000A02C: 7E0C0338
	s_mov_b64 s[60:61], 0                                      // 00000000A030: BEBC0180
	v_readlane_b32 s82, v3, 0                                  // 00000000A034: D2890052 00010103
	s_and_b32 s82, s82, 0xffffff                               // 00000000A03C: 8652FF52 00FFFFFF
	s_cmp_lt_u32 s82, s66                                      // 00000000A044: BF0A4252
	s_cselect_b32 s20, s36, s60                                // 00000000A048: 85143C24
	v_readlane_b32 s82, v3, 1                                  // 00000000A04C: D2890052 00010303
	s_and_b32 s82, s82, 0xffffff                               // 00000000A054: 8652FF52 00FFFFFF
	s_cmp_lt_u32 s82, s66                                      // 00000000A05C: BF0A4252
	s_cselect_b32 s21, s36, s60                                // 00000000A060: 85153C24
	s_mov_b64 exec, s[20:21]                                   // 00000000A064: BEFE0114
	global_atomic_add_f32 v6, v102, s[8:9] offset:8            // 00000000A068: DD348008 00086606
	s_mov_b64 exec, s[36:37]                                   // 00000000A070: BEFE0124
	v_mov_b32_e32 v6, v57                                      // 00000000A074: 7E0C0339
	s_mov_b64 s[60:61], 0                                      // 00000000A078: BEBC0180
	v_readlane_b32 s82, v3, 2                                  // 00000000A07C: D2890052 00010503
	s_and_b32 s82, s82, 0xffffff                               // 00000000A084: 8652FF52 00FFFFFF
	s_cmp_lt_u32 s82, s66                                      // 00000000A08C: BF0A4252
	s_cselect_b32 s20, s36, s60                                // 00000000A090: 85143C24
	v_readlane_b32 s82, v3, 3                                  // 00000000A094: D2890052 00010703
	s_and_b32 s82, s82, 0xffffff                               // 00000000A09C: 8652FF52 00FFFFFF
	s_cmp_lt_u32 s82, s66                                      // 00000000A0A4: BF0A4252
	s_cselect_b32 s21, s36, s60                                // 00000000A0A8: 85153C24
	s_mov_b64 exec, s[20:21]                                   // 00000000A0AC: BEFE0114
	global_atomic_add_f32 v6, v103, s[8:9] offset:8            // 00000000A0B0: DD348008 00086706
	s_mov_b64 exec, s[36:37]                                   // 00000000A0B8: BEFE0124
	v_mov_b32_e32 v6, v58                                      // 00000000A0BC: 7E0C033A
	s_mov_b64 s[60:61], 0                                      // 00000000A0C0: BEBC0180
	v_readlane_b32 s82, v3, 4                                  // 00000000A0C4: D2890052 00010903
	s_and_b32 s82, s82, 0xffffff                               // 00000000A0CC: 8652FF52 00FFFFFF
	s_cmp_lt_u32 s82, s66                                      // 00000000A0D4: BF0A4252
	s_cselect_b32 s20, s36, s60                                // 00000000A0D8: 85143C24
	v_readlane_b32 s82, v3, 5                                  // 00000000A0DC: D2890052 00010B03
	s_and_b32 s82, s82, 0xffffff                               // 00000000A0E4: 8652FF52 00FFFFFF
	s_cmp_lt_u32 s82, s66                                      // 00000000A0EC: BF0A4252
	s_cselect_b32 s21, s36, s60                                // 00000000A0F0: 85153C24
	s_mov_b64 exec, s[20:21]                                   // 00000000A0F4: BEFE0114
	global_atomic_add_f32 v6, v106, s[8:9] offset:8            // 00000000A0F8: DD348008 00086A06
	s_mov_b64 exec, s[36:37]                                   // 00000000A100: BEFE0124
	v_mov_b32_e32 v6, v59                                      // 00000000A104: 7E0C033B
	s_mov_b64 s[60:61], 0                                      // 00000000A108: BEBC0180
	v_readlane_b32 s82, v3, 6                                  // 00000000A10C: D2890052 00010D03
	s_and_b32 s82, s82, 0xffffff                               // 00000000A114: 8652FF52 00FFFFFF
	s_cmp_lt_u32 s82, s66                                      // 00000000A11C: BF0A4252
	s_cselect_b32 s20, s36, s60                                // 00000000A120: 85143C24
	v_readlane_b32 s82, v3, 7                                  // 00000000A124: D2890052 00010F03
	s_and_b32 s82, s82, 0xffffff                               // 00000000A12C: 8652FF52 00FFFFFF
	s_cmp_lt_u32 s82, s66                                      // 00000000A134: BF0A4252
	s_cselect_b32 s21, s36, s60                                // 00000000A138: 85153C24
	s_mov_b64 exec, s[20:21]                                   // 00000000A13C: BEFE0114
	global_atomic_add_f32 v6, v107, s[8:9] offset:8            // 00000000A140: DD348008 00086B06
	s_mov_b64 exec, s[36:37]                                   // 00000000A148: BEFE0124
	v_mov_b32_e32 v6, v60                                      // 00000000A14C: 7E0C033C
	s_mov_b64 s[60:61], 0                                      // 00000000A150: BEBC0180
	v_readlane_b32 s82, v3, 8                                  // 00000000A154: D2890052 00011103
	s_and_b32 s82, s82, 0xffffff                               // 00000000A15C: 8652FF52 00FFFFFF
	s_cmp_lt_u32 s82, s66                                      // 00000000A164: BF0A4252
	s_cselect_b32 s20, s36, s60                                // 00000000A168: 85143C24
	v_readlane_b32 s82, v3, 9                                  // 00000000A16C: D2890052 00011303
	s_and_b32 s82, s82, 0xffffff                               // 00000000A174: 8652FF52 00FFFFFF
	s_cmp_lt_u32 s82, s66                                      // 00000000A17C: BF0A4252
	s_cselect_b32 s21, s36, s60                                // 00000000A180: 85153C24
	s_mov_b64 exec, s[20:21]                                   // 00000000A184: BEFE0114
	global_atomic_add_f32 v6, v110, s[8:9] offset:8            // 00000000A188: DD348008 00086E06
	s_mov_b64 exec, s[36:37]                                   // 00000000A190: BEFE0124
	v_mov_b32_e32 v6, v61                                      // 00000000A194: 7E0C033D
	s_mov_b64 s[60:61], 0                                      // 00000000A198: BEBC0180
	v_readlane_b32 s82, v3, 10                                 // 00000000A19C: D2890052 00011503
	s_and_b32 s82, s82, 0xffffff                               // 00000000A1A4: 8652FF52 00FFFFFF
	s_cmp_lt_u32 s82, s66                                      // 00000000A1AC: BF0A4252
	s_cselect_b32 s20, s36, s60                                // 00000000A1B0: 85143C24
	v_readlane_b32 s82, v3, 11                                 // 00000000A1B4: D2890052 00011703
	s_and_b32 s82, s82, 0xffffff                               // 00000000A1BC: 8652FF52 00FFFFFF
	s_cmp_lt_u32 s82, s66                                      // 00000000A1C4: BF0A4252
	s_cselect_b32 s21, s36, s60                                // 00000000A1C8: 85153C24
	s_mov_b64 exec, s[20:21]                                   // 00000000A1CC: BEFE0114
	global_atomic_add_f32 v6, v111, s[8:9] offset:8            // 00000000A1D0: DD348008 00086F06
	s_mov_b64 exec, s[36:37]                                   // 00000000A1D8: BEFE0124
	v_mov_b32_e32 v6, v62                                      // 00000000A1DC: 7E0C033E
	s_mov_b64 s[60:61], 0                                      // 00000000A1E0: BEBC0180
	v_readlane_b32 s82, v3, 12                                 // 00000000A1E4: D2890052 00011903
	s_and_b32 s82, s82, 0xffffff                               // 00000000A1EC: 8652FF52 00FFFFFF
	s_cmp_lt_u32 s82, s66                                      // 00000000A1F4: BF0A4252
	s_cselect_b32 s20, s36, s60                                // 00000000A1F8: 85143C24
	v_readlane_b32 s82, v3, 13                                 // 00000000A1FC: D2890052 00011B03
	s_and_b32 s82, s82, 0xffffff                               // 00000000A204: 8652FF52 00FFFFFF
	s_cmp_lt_u32 s82, s66                                      // 00000000A20C: BF0A4252
	s_cselect_b32 s21, s36, s60                                // 00000000A210: 85153C24
	s_mov_b64 exec, s[20:21]                                   // 00000000A214: BEFE0114
	global_atomic_add_f32 v6, v114, s[8:9] offset:8            // 00000000A218: DD348008 00087206
	s_mov_b64 exec, s[36:37]                                   // 00000000A220: BEFE0124
	v_mov_b32_e32 v6, v63                                      // 00000000A224: 7E0C033F
	s_mov_b64 s[60:61], 0                                      // 00000000A228: BEBC0180
	v_readlane_b32 s82, v3, 14                                 // 00000000A22C: D2890052 00011D03
	s_and_b32 s82, s82, 0xffffff                               // 00000000A234: 8652FF52 00FFFFFF
	s_cmp_lt_u32 s82, s66                                      // 00000000A23C: BF0A4252
	s_cselect_b32 s20, s36, s60                                // 00000000A240: 85143C24
	v_readlane_b32 s82, v3, 15                                 // 00000000A244: D2890052 00011F03
	s_and_b32 s82, s82, 0xffffff                               // 00000000A24C: 8652FF52 00FFFFFF
	s_cmp_lt_u32 s82, s66                                      // 00000000A254: BF0A4252
	s_cselect_b32 s21, s36, s60                                // 00000000A258: 85153C24
	s_mov_b64 exec, s[20:21]                                   // 00000000A25C: BEFE0114
	global_atomic_add_f32 v6, v115, s[8:9] offset:8            // 00000000A260: DD348008 00087306
	s_mov_b64 exec, s[36:37]                                   // 00000000A268: BEFE0124
	v_mov_b32_e32 v6, v64                                      // 00000000A26C: 7E0C0340
	s_mov_b64 s[60:61], 0                                      // 00000000A270: BEBC0180
	v_readlane_b32 s82, v3, 16                                 // 00000000A274: D2890052 00012103
	s_and_b32 s82, s82, 0xffffff                               // 00000000A27C: 8652FF52 00FFFFFF
	s_cmp_lt_u32 s82, s66                                      // 00000000A284: BF0A4252
	s_cselect_b32 s20, s36, s60                                // 00000000A288: 85143C24
	v_readlane_b32 s82, v3, 17                                 // 00000000A28C: D2890052 00012303
	s_and_b32 s82, s82, 0xffffff                               // 00000000A294: 8652FF52 00FFFFFF
	s_cmp_lt_u32 s82, s66                                      // 00000000A29C: BF0A4252
	s_cselect_b32 s21, s36, s60                                // 00000000A2A0: 85153C24
	s_mov_b64 exec, s[20:21]                                   // 00000000A2A4: BEFE0114
	global_atomic_add_f32 v6, v118, s[8:9] offset:8            // 00000000A2A8: DD348008 00087606
	s_mov_b64 exec, s[36:37]                                   // 00000000A2B0: BEFE0124
	v_mov_b32_e32 v6, v65                                      // 00000000A2B4: 7E0C0341
	s_mov_b64 s[60:61], 0                                      // 00000000A2B8: BEBC0180
	v_readlane_b32 s82, v3, 18                                 // 00000000A2BC: D2890052 00012503
	s_and_b32 s82, s82, 0xffffff                               // 00000000A2C4: 8652FF52 00FFFFFF
	s_cmp_lt_u32 s82, s66                                      // 00000000A2CC: BF0A4252
	s_cselect_b32 s20, s36, s60                                // 00000000A2D0: 85143C24
	v_readlane_b32 s82, v3, 19                                 // 00000000A2D4: D2890052 00012703
	s_and_b32 s82, s82, 0xffffff                               // 00000000A2DC: 8652FF52 00FFFFFF
	s_cmp_lt_u32 s82, s66                                      // 00000000A2E4: BF0A4252
	s_cselect_b32 s21, s36, s60                                // 00000000A2E8: 85153C24
	s_mov_b64 exec, s[20:21]                                   // 00000000A2EC: BEFE0114
	global_atomic_add_f32 v6, v119, s[8:9] offset:8            // 00000000A2F0: DD348008 00087706
	s_mov_b64 exec, s[36:37]                                   // 00000000A2F8: BEFE0124
	v_mov_b32_e32 v6, v66                                      // 00000000A2FC: 7E0C0342
	s_mov_b64 s[60:61], 0                                      // 00000000A300: BEBC0180
	v_readlane_b32 s82, v3, 20                                 // 00000000A304: D2890052 00012903
	s_and_b32 s82, s82, 0xffffff                               // 00000000A30C: 8652FF52 00FFFFFF
	s_cmp_lt_u32 s82, s66                                      // 00000000A314: BF0A4252
	s_cselect_b32 s20, s36, s60                                // 00000000A318: 85143C24
	v_readlane_b32 s82, v3, 21                                 // 00000000A31C: D2890052 00012B03
	s_and_b32 s82, s82, 0xffffff                               // 00000000A324: 8652FF52 00FFFFFF
	s_cmp_lt_u32 s82, s66                                      // 00000000A32C: BF0A4252
	s_cselect_b32 s21, s36, s60                                // 00000000A330: 85153C24
	s_mov_b64 exec, s[20:21]                                   // 00000000A334: BEFE0114
	global_atomic_add_f32 v6, v122, s[8:9] offset:8            // 00000000A338: DD348008 00087A06
	s_mov_b64 exec, s[36:37]                                   // 00000000A340: BEFE0124
	v_mov_b32_e32 v6, v67                                      // 00000000A344: 7E0C0343
	s_mov_b64 s[60:61], 0                                      // 00000000A348: BEBC0180
	v_readlane_b32 s82, v3, 22                                 // 00000000A34C: D2890052 00012D03
	s_and_b32 s82, s82, 0xffffff                               // 00000000A354: 8652FF52 00FFFFFF
	s_cmp_lt_u32 s82, s66                                      // 00000000A35C: BF0A4252
	s_cselect_b32 s20, s36, s60                                // 00000000A360: 85143C24
	v_readlane_b32 s82, v3, 23                                 // 00000000A364: D2890052 00012F03
	s_and_b32 s82, s82, 0xffffff                               // 00000000A36C: 8652FF52 00FFFFFF
	s_cmp_lt_u32 s82, s66                                      // 00000000A374: BF0A4252
	s_cselect_b32 s21, s36, s60                                // 00000000A378: 85153C24
	s_mov_b64 exec, s[20:21]                                   // 00000000A37C: BEFE0114
	global_atomic_add_f32 v6, v123, s[8:9] offset:8            // 00000000A380: DD348008 00087B06
	s_mov_b64 exec, s[36:37]                                   // 00000000A388: BEFE0124
	v_mov_b32_e32 v6, v68                                      // 00000000A38C: 7E0C0344
	s_mov_b64 s[60:61], 0                                      // 00000000A390: BEBC0180
	v_readlane_b32 s82, v3, 24                                 // 00000000A394: D2890052 00013103
	s_and_b32 s82, s82, 0xffffff                               // 00000000A39C: 8652FF52 00FFFFFF
	s_cmp_lt_u32 s82, s66                                      // 00000000A3A4: BF0A4252
	s_cselect_b32 s20, s36, s60                                // 00000000A3A8: 85143C24
	v_readlane_b32 s82, v3, 25                                 // 00000000A3AC: D2890052 00013303
	s_and_b32 s82, s82, 0xffffff                               // 00000000A3B4: 8652FF52 00FFFFFF
	s_cmp_lt_u32 s82, s66                                      // 00000000A3BC: BF0A4252
	s_cselect_b32 s21, s36, s60                                // 00000000A3C0: 85153C24
	s_mov_b64 exec, s[20:21]                                   // 00000000A3C4: BEFE0114
	global_atomic_add_f32 v6, v126, s[8:9] offset:8            // 00000000A3C8: DD348008 00087E06
	s_mov_b64 exec, s[36:37]                                   // 00000000A3D0: BEFE0124
	v_mov_b32_e32 v6, v69                                      // 00000000A3D4: 7E0C0345
	s_mov_b64 s[60:61], 0                                      // 00000000A3D8: BEBC0180
	v_readlane_b32 s82, v3, 26                                 // 00000000A3DC: D2890052 00013503
	s_and_b32 s82, s82, 0xffffff                               // 00000000A3E4: 8652FF52 00FFFFFF
	s_cmp_lt_u32 s82, s66                                      // 00000000A3EC: BF0A4252
	s_cselect_b32 s20, s36, s60                                // 00000000A3F0: 85143C24
	v_readlane_b32 s82, v3, 27                                 // 00000000A3F4: D2890052 00013703
	s_and_b32 s82, s82, 0xffffff                               // 00000000A3FC: 8652FF52 00FFFFFF
	s_cmp_lt_u32 s82, s66                                      // 00000000A404: BF0A4252
	s_cselect_b32 s21, s36, s60                                // 00000000A408: 85153C24
	s_mov_b64 exec, s[20:21]                                   // 00000000A40C: BEFE0114
	global_atomic_add_f32 v6, v127, s[8:9] offset:8            // 00000000A410: DD348008 00087F06
	s_mov_b64 exec, s[36:37]                                   // 00000000A418: BEFE0124
	s_branch label_1E8B                                        // 00000000A41C: BF820000

000000000000a420 <label_1E8B>:
	s_waitcnt vmcnt(0) expcnt(0) lgkmcnt(0)                    // 00000000A420: BF8C0000
	s_endpgm                                                   // 00000000A424: BF810000
